;; amdgpu-corpus repo=ROCm/rocFFT kind=compiled arch=gfx1201 opt=O3
	.text
	.amdgcn_target "amdgcn-amd-amdhsa--gfx1201"
	.amdhsa_code_object_version 6
	.protected	bluestein_single_back_len875_dim1_half_op_CI_CI ; -- Begin function bluestein_single_back_len875_dim1_half_op_CI_CI
	.globl	bluestein_single_back_len875_dim1_half_op_CI_CI
	.p2align	8
	.type	bluestein_single_back_len875_dim1_half_op_CI_CI,@function
bluestein_single_back_len875_dim1_half_op_CI_CI: ; @bluestein_single_back_len875_dim1_half_op_CI_CI
; %bb.0:
	s_load_b128 s[4:7], s[0:1], 0x28
	v_mul_u32_u24_e32 v1, 0x177, v0
	s_mov_b32 s2, exec_lo
	v_mov_b32_e32 v13, 0
	s_delay_alu instid0(VALU_DEP_2) | instskip(NEXT) | instid1(VALU_DEP_1)
	v_lshrrev_b32_e32 v1, 16, v1
	v_add_nc_u32_e32 v12, ttmp9, v1
	s_wait_kmcnt 0x0
	s_delay_alu instid0(VALU_DEP_1)
	v_cmpx_gt_u64_e64 s[4:5], v[12:13]
	s_cbranch_execz .LBB0_15
; %bb.1:
	s_clause 0x1
	s_load_b64 s[8:9], s[0:1], 0x0
	s_load_b64 s[4:5], s[0:1], 0x38
	v_mul_lo_u16 v1, 0xaf, v1
	s_delay_alu instid0(VALU_DEP_1) | instskip(NEXT) | instid1(VALU_DEP_1)
	v_sub_nc_u16 v0, v0, v1
	v_and_b32_e32 v19, 0xffff, v0
	v_cmp_gt_u16_e32 vcc_lo, 0x7d, v0
	s_delay_alu instid0(VALU_DEP_2)
	v_lshlrev_b32_e32 v20, 2, v19
	s_and_saveexec_b32 s3, vcc_lo
	s_cbranch_execz .LBB0_3
; %bb.2:
	s_load_b64 s[10:11], s[0:1], 0x18
	s_wait_kmcnt 0x0
	s_load_b128 s[12:15], s[10:11], 0x0
	s_wait_kmcnt 0x0
	v_mad_co_u64_u32 v[0:1], null, s14, v12, 0
	v_mad_co_u64_u32 v[2:3], null, s12, v19, 0
	s_delay_alu instid0(VALU_DEP_1) | instskip(NEXT) | instid1(VALU_DEP_1)
	v_mad_co_u64_u32 v[4:5], null, s15, v12, v[1:2]
	v_mad_co_u64_u32 v[5:6], null, s13, v19, v[3:4]
	v_mov_b32_e32 v1, v4
	s_delay_alu instid0(VALU_DEP_1) | instskip(NEXT) | instid1(VALU_DEP_3)
	v_lshlrev_b64_e32 v[0:1], 2, v[0:1]
	v_mov_b32_e32 v3, v5
	s_delay_alu instid0(VALU_DEP_2) | instskip(NEXT) | instid1(VALU_DEP_2)
	v_add_co_u32 v0, s2, s6, v0
	v_lshlrev_b64_e32 v[2:3], 2, v[2:3]
	s_delay_alu instid0(VALU_DEP_4) | instskip(SKIP_1) | instid1(VALU_DEP_2)
	v_add_co_ci_u32_e64 v1, s2, s7, v1, s2
	s_mul_u64 s[6:7], s[12:13], 0x1f4
	v_add_co_u32 v0, s2, v0, v2
	s_wait_alu 0xf1ff
	s_delay_alu instid0(VALU_DEP_2)
	v_add_co_ci_u32_e64 v1, s2, v1, v3, s2
	global_load_b32 v4, v[0:1], off
	s_wait_alu 0xfffe
	v_add_co_u32 v0, s2, v0, s6
	s_wait_alu 0xf1ff
	v_add_co_ci_u32_e64 v1, s2, s7, v1, s2
	s_clause 0x5
	global_load_b32 v5, v20, s[8:9]
	global_load_b32 v6, v20, s[8:9] offset:500
	global_load_b32 v7, v20, s[8:9] offset:1000
	global_load_b32 v8, v20, s[8:9] offset:1500
	global_load_b32 v9, v20, s[8:9] offset:2000
	global_load_b32 v10, v20, s[8:9] offset:2500
	global_load_b32 v11, v[0:1], off
	v_add_co_u32 v0, s2, v0, s6
	s_wait_alu 0xf1ff
	v_add_co_ci_u32_e64 v1, s2, s7, v1, s2
	global_load_b32 v13, v20, s[8:9] offset:3000
	v_add_co_u32 v2, s2, v0, s6
	s_wait_alu 0xf1ff
	v_add_co_ci_u32_e64 v3, s2, s7, v1, s2
	s_clause 0x1
	global_load_b32 v14, v[0:1], off
	global_load_b32 v15, v[2:3], off
	v_add_co_u32 v0, s2, v2, s6
	s_wait_alu 0xf1ff
	v_add_co_ci_u32_e64 v1, s2, s7, v3, s2
	s_delay_alu instid0(VALU_DEP_2) | instskip(SKIP_1) | instid1(VALU_DEP_2)
	v_add_co_u32 v2, s2, v0, s6
	s_wait_alu 0xf1ff
	v_add_co_ci_u32_e64 v3, s2, s7, v1, s2
	global_load_b32 v16, v[0:1], off
	v_add_co_u32 v0, s2, v2, s6
	s_wait_alu 0xf1ff
	v_add_co_ci_u32_e64 v1, s2, s7, v3, s2
	global_load_b32 v2, v[2:3], off
	global_load_b32 v0, v[0:1], off
	s_wait_loadcnt 0xc
	v_lshrrev_b32_e32 v1, 16, v5
	s_wait_loadcnt 0xb
	v_lshrrev_b32_e32 v3, 16, v6
	v_lshrrev_b32_e32 v18, 16, v4
	s_wait_loadcnt 0xa
	v_lshrrev_b32_e32 v17, 16, v7
	s_wait_loadcnt 0x9
	v_lshrrev_b32_e32 v21, 16, v8
	v_mul_f16_e32 v24, v1, v4
	s_wait_loadcnt 0x6
	v_lshrrev_b32_e32 v25, 16, v11
	v_mul_f16_e32 v1, v1, v18
	v_mul_f16_e32 v27, v3, v11
	v_lshrrev_b32_e32 v22, 16, v9
	v_fma_f16 v18, v5, v18, -v24
	v_mul_f16_e32 v3, v3, v25
	v_fmac_f16_e32 v1, v5, v4
	v_fma_f16 v5, v6, v25, -v27
	v_lshrrev_b32_e32 v23, 16, v10
	s_wait_loadcnt 0x5
	v_lshrrev_b32_e32 v26, 16, v13
	s_wait_loadcnt 0x4
	v_lshrrev_b32_e32 v4, 16, v14
	v_fmac_f16_e32 v3, v6, v11
	v_mul_f16_e32 v24, v17, v14
	s_wait_loadcnt 0x3
	v_lshrrev_b32_e32 v11, 16, v15
	v_pack_b32_f16 v1, v1, v18
	v_mul_f16_e32 v6, v17, v4
	v_mul_f16_e32 v17, v21, v15
	v_pack_b32_f16 v3, v3, v5
	v_mul_f16_e32 v5, v21, v11
	v_fma_f16 v4, v7, v4, -v24
	v_fmac_f16_e32 v6, v7, v14
	v_fma_f16 v11, v8, v11, -v17
	s_wait_loadcnt 0x2
	v_lshrrev_b32_e32 v7, 16, v16
	v_mul_f16_e32 v14, v22, v16
	v_fmac_f16_e32 v5, v8, v15
	v_pack_b32_f16 v4, v6, v4
	s_delay_alu instid0(VALU_DEP_4)
	v_mul_f16_e32 v6, v22, v7
	s_wait_loadcnt 0x1
	v_lshrrev_b32_e32 v8, 16, v2
	s_wait_loadcnt 0x0
	v_lshrrev_b32_e32 v15, 16, v0
	v_fma_f16 v7, v9, v7, -v14
	v_mul_f16_e32 v14, v23, v2
	v_pack_b32_f16 v5, v5, v11
	v_mul_f16_e32 v11, v23, v8
	v_mul_f16_e32 v17, v26, v15
	;; [unrolled: 1-line block ×3, first 2 shown]
	v_fmac_f16_e32 v6, v9, v16
	v_fma_f16 v8, v10, v8, -v14
	v_fmac_f16_e32 v11, v10, v2
	v_fmac_f16_e32 v17, v13, v0
	v_fma_f16 v0, v13, v15, -v18
	v_add_nc_u32_e32 v2, 0x200, v20
	v_pack_b32_f16 v6, v6, v7
	v_pack_b32_f16 v7, v11, v8
	v_add_nc_u32_e32 v8, 0x600, v20
	v_pack_b32_f16 v0, v17, v0
	ds_store_2addr_b32 v20, v1, v3 offset1:125
	ds_store_2addr_b32 v2, v4, v5 offset0:122 offset1:247
	ds_store_2addr_b32 v8, v6, v7 offset0:116 offset1:241
	ds_store_b32 v20, v0 offset:3000
.LBB0_3:
	s_or_b32 exec_lo, exec_lo, s3
	s_clause 0x1
	s_load_b64 s[2:3], s[0:1], 0x20
	s_load_b64 s[6:7], s[0:1], 0x8
	v_dual_mov_b32 v1, 0 :: v_dual_mov_b32 v2, 0
	v_mov_b32_e32 v4, 0
	v_mov_b32_e32 v0, 0
	global_wb scope:SCOPE_SE
	s_wait_dscnt 0x0
	s_wait_kmcnt 0x0
	s_barrier_signal -1
	s_barrier_wait -1
	global_inv scope:SCOPE_SE
                                        ; implicit-def: $vgpr6
	s_and_saveexec_b32 s0, vcc_lo
	s_cbranch_execz .LBB0_5
; %bb.4:
	v_add_nc_u32_e32 v0, 0x200, v20
	v_add_nc_u32_e32 v1, 0x600, v20
	ds_load_b32 v6, v20 offset:3000
	ds_load_2addr_b32 v[2:3], v0 offset0:122 offset1:247
	ds_load_2addr_b32 v[4:5], v1 offset0:116 offset1:241
	ds_load_2addr_b32 v[0:1], v20 offset1:125
.LBB0_5:
	s_wait_alu 0xfffe
	s_or_b32 exec_lo, exec_lo, s0
	s_wait_dscnt 0x0
	v_pk_add_f16 v7, v6, v1
	v_pk_add_f16 v8, v5, v2
	v_pk_add_f16 v2, v2, v5 neg_lo:[0,1] neg_hi:[0,1]
	v_pk_add_f16 v5, v3, v4
	v_pk_add_f16 v3, v4, v3 neg_lo:[0,1] neg_hi:[0,1]
	v_pk_add_f16 v6, v1, v6 neg_lo:[0,1] neg_hi:[0,1]
	v_pk_add_f16 v4, v7, v8
	v_pk_add_f16 v1, v8, v7 neg_lo:[0,1] neg_hi:[0,1]
	v_pk_add_f16 v7, v7, v5 neg_lo:[0,1] neg_hi:[0,1]
	v_pk_add_f16 v9, v2, v3 op_sel:[1,1] op_sel_hi:[0,0]
	v_pk_add_f16 v11, v6, v3 op_sel:[1,1] op_sel_hi:[0,0] neg_lo:[0,1] neg_hi:[0,1]
	v_pk_add_f16 v10, v4, v5
	v_pk_add_f16 v4, v2, v6 op_sel:[1,1] op_sel_hi:[0,0] neg_lo:[0,1] neg_hi:[0,1]
	v_pk_add_f16 v2, v3, v2 op_sel:[1,1] op_sel_hi:[0,0] neg_lo:[0,1] neg_hi:[0,1]
	v_pk_add_f16 v5, v5, v8 neg_lo:[0,1] neg_hi:[0,1]
	v_pk_mul_f16 v7, 0x3a52, v7 op_sel_hi:[0,1]
	v_pk_add_f16 v0, v10, v0
	v_pk_mul_f16 v3, 0x3b00, v4 op_sel_hi:[0,1]
	v_pk_mul_f16 v4, 0xb846, v2 op_sel_hi:[0,1]
	v_pk_add_f16 v8, v6, v9 op_sel:[1,0] op_sel_hi:[0,1]
	v_pk_fma_f16 v6, 0x39e0, v1, v7 op_sel_hi:[0,1,1] neg_lo:[0,1,1] neg_hi:[0,1,1]
	v_pk_fma_f16 v2, 0xbcab, v10, v0 op_sel_hi:[0,1,1]
	v_pk_fma_f16 v9, 0x3574, v11, v3 op_sel_hi:[0,1,1] neg_lo:[0,1,1] neg_hi:[0,1,1]
	v_pk_fma_f16 v10, 0x3574, v11, v4 op_sel_hi:[0,1,1]
	v_pk_fma_f16 v7, 0x2b26, v5, v7 op_sel_hi:[0,1,1]
	v_mul_lo_u16 v23, v19, 7
	v_pk_add_f16 v11, v6, v2
	v_pk_fma_f16 v9, 0x370e, v8, v9 op_sel_hi:[0,1,1]
	v_pk_fma_f16 v10, 0x370e, v8, v10 op_sel_hi:[0,1,1]
	v_pk_add_f16 v13, v7, v2
	global_wb scope:SCOPE_SE
	s_barrier_signal -1
	v_pk_add_f16 v6, v11, v9 neg_lo:[0,1] neg_hi:[0,1]
	v_pk_add_f16 v7, v11, v9
	v_pk_add_f16 v9, v13, v10 neg_lo:[0,1] neg_hi:[0,1]
	v_pk_add_f16 v10, v13, v10
	s_barrier_wait -1
	global_inv scope:SCOPE_SE
	v_bfi_b32 v14, 0xffff, v6, v7
	v_bfi_b32 v24, 0xffff, v9, v10
	s_and_saveexec_b32 s0, vcc_lo
	s_cbranch_execz .LBB0_7
; %bb.6:
	v_pk_mul_f16 v1, 0x39e0, v1 op_sel_hi:[0,1]
	v_pk_mul_f16 v5, 0x2b26, v5 op_sel_hi:[0,1]
	v_pk_mul_f16 v8, 0x370e, v8 op_sel_hi:[0,1]
	v_pk_add_f16 v3, v3, v4 neg_lo:[0,1] neg_hi:[0,1]
	s_delay_alu instid0(VALU_DEP_3) | instskip(SKIP_1) | instid1(VALU_DEP_3)
	v_pk_add_f16 v1, v1, v5 neg_lo:[0,1] neg_hi:[0,1]
	v_bfi_b32 v5, 0xffff, v7, v6
	v_pk_add_f16 v3, v3, v8
	s_delay_alu instid0(VALU_DEP_3) | instskip(SKIP_1) | instid1(VALU_DEP_2)
	v_pk_add_f16 v1, v1, v2
	v_and_b32_e32 v2, 0xffff, v23
	v_pk_add_f16 v4, v1, v3 neg_lo:[0,1] neg_hi:[0,1]
	v_pk_add_f16 v1, v1, v3
	v_bfi_b32 v3, 0xffff, v10, v9
	s_delay_alu instid0(VALU_DEP_4) | instskip(NEXT) | instid1(VALU_DEP_3)
	v_lshlrev_b32_e32 v2, 2, v2
	v_bfi_b32 v6, 0xffff, v4, v1
	v_bfi_b32 v1, 0xffff, v1, v4
	ds_store_2addr_b32 v2, v0, v3 offset1:1
	ds_store_2addr_b32 v2, v5, v6 offset0:2 offset1:3
	ds_store_2addr_b32 v2, v1, v14 offset0:4 offset1:5
	ds_store_b32 v2, v24 offset:24
.LBB0_7:
	s_wait_alu 0xfffe
	s_or_b32 exec_lo, exec_lo, s0
	v_and_b32_e32 v6, 0xff, v19
	s_load_b128 s[0:3], s[2:3], 0x0
	global_wb scope:SCOPE_SE
	s_wait_dscnt 0x0
	s_wait_kmcnt 0x0
	s_barrier_signal -1
	s_barrier_wait -1
	v_mul_lo_u16 v0, v6, 37
	global_inv scope:SCOPE_SE
	v_add_nc_u32_e32 v33, 0x500, v20
	ds_load_2addr_b32 v[4:5], v20 offset1:175
	v_mul_lo_u16 v10, 0xeb, v6
	v_lshrrev_b16 v0, 8, v0
	s_delay_alu instid0(VALU_DEP_2) | instskip(NEXT) | instid1(VALU_DEP_2)
	v_lshrrev_b16 v13, 13, v10
	v_sub_nc_u16 v1, v19, v0
	s_delay_alu instid0(VALU_DEP_2) | instskip(NEXT) | instid1(VALU_DEP_2)
	v_mul_lo_u16 v10, v13, 35
	v_lshrrev_b16 v1, 1, v1
	v_and_b32_e32 v13, 0xffff, v13
	s_delay_alu instid0(VALU_DEP_3) | instskip(NEXT) | instid1(VALU_DEP_3)
	v_sub_nc_u16 v10, v19, v10
	v_and_b32_e32 v1, 0x7f, v1
	s_delay_alu instid0(VALU_DEP_3)
	v_mul_u32_u24_e32 v13, 0xaf, v13
	s_wait_dscnt 0x0
	v_lshrrev_b32_e32 v16, 16, v5
	v_and_b32_e32 v17, 0xff, v10
	v_add_nc_u16 v0, v1, v0
	v_lshrrev_b32_e32 v15, 16, v4
	s_delay_alu instid0(VALU_DEP_3) | instskip(NEXT) | instid1(VALU_DEP_3)
	v_lshlrev_b32_e32 v29, 4, v17
	v_lshrrev_b16 v8, 2, v0
	s_delay_alu instid0(VALU_DEP_1) | instskip(SKIP_1) | instid1(VALU_DEP_2)
	v_mul_lo_u16 v0, v8, 7
	v_and_b32_e32 v8, 0xffff, v8
	v_sub_nc_u16 v0, v19, v0
	s_delay_alu instid0(VALU_DEP_2) | instskip(NEXT) | instid1(VALU_DEP_2)
	v_mul_u32_u24_e32 v8, 35, v8
	v_and_b32_e32 v9, 0xff, v0
	s_delay_alu instid0(VALU_DEP_1) | instskip(NEXT) | instid1(VALU_DEP_3)
	v_lshlrev_b32_e32 v0, 4, v9
	v_add_lshl_u32 v21, v8, v9, 2
	global_load_b128 v[0:3], v0, s[6:7]
	ds_load_b32 v11, v20 offset:2800
	ds_load_2addr_b32 v[6:7], v33 offset0:30 offset1:205
	global_wb scope:SCOPE_SE
	s_wait_loadcnt_dscnt 0x0
	s_barrier_signal -1
	s_barrier_wait -1
	global_inv scope:SCOPE_SE
	v_lshrrev_b32_e32 v10, 16, v11
	v_lshrrev_b32_e32 v18, 16, v6
	;; [unrolled: 1-line block ×7, first 2 shown]
	s_delay_alu instid0(VALU_DEP_4)
	v_mul_f16_e32 v8, v16, v27
	v_mul_f16_e32 v9, v5, v27
	;; [unrolled: 1-line block ×8, first 2 shown]
	v_fma_f16 v5, v5, v0, -v8
	v_fmac_f16_e32 v9, v16, v0
	v_fma_f16 v6, v6, v1, -v30
	v_fmac_f16_e32 v31, v18, v1
	;; [unrolled: 2-line block ×4, first 2 shown]
	v_add_f16_e32 v10, v4, v5
	v_add_f16_e32 v11, v6, v7
	v_sub_f16_e32 v22, v5, v6
	v_sub_f16_e32 v30, v8, v7
	v_add_f16_e32 v38, v15, v9
	v_add_f16_e32 v39, v31, v34
	v_add_f16_e32 v32, v5, v8
	v_add_f16_e32 v43, v9, v36
	v_sub_f16_e32 v16, v9, v36
	v_sub_f16_e32 v18, v31, v34
	;; [unrolled: 1-line block ×7, first 2 shown]
	v_add_f16_e32 v6, v10, v6
	v_fma_f16 v10, -0.5, v11, v4
	v_add_f16_e32 v11, v22, v30
	v_add_f16_e32 v30, v38, v31
	v_fma_f16 v31, -0.5, v39, v15
	v_sub_f16_e32 v37, v7, v8
	v_fmac_f16_e32 v4, -0.5, v32
	v_fmac_f16_e32 v15, -0.5, v43
	v_sub_f16_e32 v42, v36, v34
	v_sub_f16_e32 v44, v34, v36
	v_add_f16_e32 v6, v6, v7
	v_fmamk_f16 v7, v16, 0x3b9c, v10
	v_add_f16_e32 v30, v30, v34
	v_fmamk_f16 v34, v5, 0xbb9c, v31
	;; [unrolled: 2-line block ×3, first 2 shown]
	v_fmac_f16_e32 v4, 0x3b9c, v18
	v_fmamk_f16 v37, v40, 0x3b9c, v15
	v_fmac_f16_e32 v15, 0xbb9c, v40
	v_fmac_f16_e32 v10, 0xbb9c, v16
	;; [unrolled: 1-line block ×3, first 2 shown]
	v_add_f16_e32 v32, v41, v42
	v_fmac_f16_e32 v7, 0x38b4, v18
	v_fmac_f16_e32 v34, 0xb8b4, v40
	v_add_f16_e32 v9, v9, v44
	v_fmac_f16_e32 v35, 0x38b4, v16
	v_fmac_f16_e32 v4, 0xb8b4, v16
	;; [unrolled: 1-line block ×6, first 2 shown]
	v_add_f16_e32 v6, v6, v8
	v_add_f16_e32 v8, v30, v36
	v_fmac_f16_e32 v7, 0x34f2, v11
	v_fmac_f16_e32 v34, 0x34f2, v32
	;; [unrolled: 1-line block ×8, first 2 shown]
	v_pack_b32_f16 v5, v6, v8
	v_pack_b32_f16 v6, v7, v34
	;; [unrolled: 1-line block ×5, first 2 shown]
	ds_store_2addr_b32 v21, v5, v6 offset1:7
	ds_store_2addr_b32 v21, v7, v4 offset0:14 offset1:21
	ds_store_b32 v21, v8 offset:112
	global_wb scope:SCOPE_SE
	s_wait_dscnt 0x0
	s_barrier_signal -1
	s_barrier_wait -1
	global_inv scope:SCOPE_SE
	global_load_b128 v[4:7], v29, s[6:7] offset:112
	ds_load_2addr_b32 v[8:9], v20 offset1:175
	ds_load_2addr_b32 v[10:11], v33 offset0:30 offset1:205
	ds_load_b32 v15, v20 offset:2800
	v_add_lshl_u32 v22, v13, v17, 2
	v_lshlrev_b32_e32 v16, 4, v19
	global_wb scope:SCOPE_SE
	s_wait_loadcnt_dscnt 0x0
	s_barrier_signal -1
	s_barrier_wait -1
	global_inv scope:SCOPE_SE
	v_lshrrev_b32_e32 v17, 16, v9
	v_lshrrev_b32_e32 v18, 16, v10
	;; [unrolled: 1-line block ×9, first 2 shown]
	s_delay_alu instid0(VALU_DEP_4)
	v_mul_f16_e32 v36, v17, v31
	v_mul_f16_e32 v37, v9, v31
	;; [unrolled: 1-line block ×8, first 2 shown]
	v_fma_f16 v9, v9, v4, -v36
	v_fmac_f16_e32 v37, v17, v4
	v_fma_f16 v10, v10, v5, -v38
	v_fmac_f16_e32 v39, v18, v5
	;; [unrolled: 2-line block ×4, first 2 shown]
	v_add_f16_e32 v17, v8, v9
	v_add_f16_e32 v18, v10, v11
	v_sub_f16_e32 v36, v9, v10
	v_sub_f16_e32 v38, v15, v11
	v_add_f16_e32 v45, v13, v37
	v_add_f16_e32 v46, v39, v41
	;; [unrolled: 1-line block ×4, first 2 shown]
	v_sub_f16_e32 v34, v37, v43
	v_sub_f16_e32 v35, v39, v41
	;; [unrolled: 1-line block ×7, first 2 shown]
	v_add_f16_e32 v10, v17, v10
	v_fma_f16 v17, -0.5, v18, v8
	v_add_f16_e32 v18, v36, v38
	v_add_f16_e32 v38, v45, v39
	v_fma_f16 v39, -0.5, v46, v13
	v_sub_f16_e32 v44, v11, v15
	v_fmac_f16_e32 v8, -0.5, v40
	v_fmac_f16_e32 v13, -0.5, v50
	v_sub_f16_e32 v49, v43, v41
	v_sub_f16_e32 v51, v41, v43
	v_add_f16_e32 v10, v10, v11
	v_fmamk_f16 v11, v34, 0x3b9c, v17
	v_add_f16_e32 v38, v38, v41
	v_fmamk_f16 v41, v9, 0xbb9c, v39
	;; [unrolled: 2-line block ×3, first 2 shown]
	v_fmac_f16_e32 v8, 0x3b9c, v35
	v_fmamk_f16 v44, v47, 0x3b9c, v13
	v_fmac_f16_e32 v13, 0xbb9c, v47
	v_fmac_f16_e32 v17, 0xbb9c, v34
	;; [unrolled: 1-line block ×3, first 2 shown]
	v_add_f16_e32 v40, v48, v49
	v_fmac_f16_e32 v11, 0x38b4, v35
	v_fmac_f16_e32 v41, 0xb8b4, v47
	v_add_f16_e32 v37, v37, v51
	v_fmac_f16_e32 v42, 0x38b4, v34
	v_fmac_f16_e32 v8, 0xb8b4, v34
	;; [unrolled: 1-line block ×6, first 2 shown]
	v_add_f16_e32 v10, v10, v15
	v_add_f16_e32 v15, v38, v43
	v_fmac_f16_e32 v11, 0x34f2, v18
	v_fmac_f16_e32 v41, 0x34f2, v40
	;; [unrolled: 1-line block ×8, first 2 shown]
	v_pack_b32_f16 v9, v10, v15
	v_pack_b32_f16 v10, v11, v41
	v_pack_b32_f16 v11, v42, v44
	v_pack_b32_f16 v8, v8, v13
	v_pack_b32_f16 v13, v17, v39
	ds_store_2addr_b32 v22, v9, v10 offset1:35
	ds_store_2addr_b32 v22, v11, v8 offset0:70 offset1:105
	ds_store_b32 v22, v13 offset:560
	global_wb scope:SCOPE_SE
	s_wait_dscnt 0x0
	s_barrier_signal -1
	s_barrier_wait -1
	global_inv scope:SCOPE_SE
	global_load_b128 v[8:11], v16, s[6:7] offset:672
	ds_load_2addr_b32 v[15:16], v20 offset1:175
	ds_load_2addr_b32 v[17:18], v33 offset0:30 offset1:205
	ds_load_b32 v13, v20 offset:2800
	s_wait_loadcnt_dscnt 0x2
	v_pk_mul_f16 v34, v16, v8 op_sel:[0,1]
	s_wait_dscnt 0x1
	v_pk_mul_f16 v35, v17, v9 op_sel:[0,1]
	v_pk_mul_f16 v36, v18, v10 op_sel:[0,1]
	s_wait_dscnt 0x0
	v_pk_mul_f16 v37, v13, v11 op_sel:[0,1]
	v_pk_fma_f16 v38, v16, v8, v34 op_sel:[0,0,1] op_sel_hi:[1,1,0] neg_lo:[0,0,1] neg_hi:[0,0,1]
	v_pk_fma_f16 v16, v16, v8, v34 op_sel:[0,0,1] op_sel_hi:[1,0,0]
	v_pk_fma_f16 v34, v17, v9, v35 op_sel:[0,0,1] op_sel_hi:[1,1,0] neg_lo:[0,0,1] neg_hi:[0,0,1]
	v_pk_fma_f16 v17, v17, v9, v35 op_sel:[0,0,1] op_sel_hi:[1,0,0]
	;; [unrolled: 2-line block ×4, first 2 shown]
	v_bfi_b32 v16, 0xffff, v38, v16
	v_bfi_b32 v17, 0xffff, v34, v17
	v_bfi_b32 v18, 0xffff, v35, v18
	s_delay_alu instid0(VALU_DEP_4) | instskip(NEXT) | instid1(VALU_DEP_4)
	v_bfi_b32 v13, 0xffff, v36, v13
	v_pk_add_f16 v34, v15, v16
	s_delay_alu instid0(VALU_DEP_4) | instskip(NEXT) | instid1(VALU_DEP_4)
	v_pk_add_f16 v39, v16, v17 neg_lo:[0,1] neg_hi:[0,1]
	v_pk_add_f16 v35, v17, v18
	v_pk_add_f16 v38, v17, v18 neg_lo:[0,1] neg_hi:[0,1]
	v_pk_add_f16 v37, v16, v13
	v_pk_add_f16 v36, v16, v13 neg_lo:[0,1] neg_hi:[0,1]
	v_pk_add_f16 v40, v13, v18 neg_lo:[0,1] neg_hi:[0,1]
	v_pk_fma_f16 v35, v35, 0.5, v15 op_sel_hi:[1,0,1] neg_lo:[1,0,0] neg_hi:[1,0,0]
	v_pk_add_f16 v16, v17, v16 neg_lo:[0,1] neg_hi:[0,1]
	v_pk_fma_f16 v15, v37, 0.5, v15 op_sel_hi:[1,0,1] neg_lo:[1,0,0] neg_hi:[1,0,0]
	v_pk_add_f16 v37, v18, v13 neg_lo:[0,1] neg_hi:[0,1]
	v_pk_add_f16 v17, v34, v17
	v_pk_fma_f16 v41, 0x3b9c, v36, v35 op_sel:[0,1,0] op_sel_hi:[0,0,1]
	v_pk_fma_f16 v35, 0x3b9c, v36, v35 op_sel:[0,1,0] op_sel_hi:[0,0,1] neg_lo:[0,1,0] neg_hi:[0,1,0]
	v_pk_fma_f16 v42, 0x3b9c, v38, v15 op_sel:[0,1,0] op_sel_hi:[0,0,1] neg_lo:[0,1,0] neg_hi:[0,1,0]
	v_pk_fma_f16 v15, 0x3b9c, v38, v15 op_sel:[0,1,0] op_sel_hi:[0,0,1]
	v_pk_add_f16 v37, v16, v37
	v_pk_fma_f16 v34, 0x38b4, v38, v41 op_sel:[0,1,0] op_sel_hi:[0,0,1]
	v_pk_fma_f16 v35, 0x38b4, v38, v35 op_sel:[0,1,0] op_sel_hi:[0,0,1] neg_lo:[0,1,0] neg_hi:[0,1,0]
	v_pk_fma_f16 v38, 0x38b4, v36, v42 op_sel:[0,1,0] op_sel_hi:[0,0,1]
	v_pk_fma_f16 v15, 0x38b4, v36, v15 op_sel:[0,1,0] op_sel_hi:[0,0,1] neg_lo:[0,1,0] neg_hi:[0,1,0]
	v_pk_add_f16 v36, v39, v40
	v_pk_add_f16 v16, v17, v18
	v_bfi_b32 v17, 0xffff, v34, v35
	v_bfi_b32 v34, 0xffff, v35, v34
	;; [unrolled: 1-line block ×4, first 2 shown]
	v_pk_add_f16 v15, v16, v13
	v_pk_fma_f16 v16, 0x34f2, v36, v17 op_sel_hi:[0,1,1]
	v_pk_fma_f16 v13, 0x34f2, v36, v34 op_sel_hi:[0,1,1]
	;; [unrolled: 1-line block ×4, first 2 shown]
	ds_store_2addr_b32 v20, v15, v16 offset1:175
	ds_store_2addr_b32 v33, v17, v18 offset0:30 offset1:205
	ds_store_b32 v20, v13 offset:2800
	global_wb scope:SCOPE_SE
	s_wait_dscnt 0x0
	s_barrier_signal -1
	s_barrier_wait -1
	global_inv scope:SCOPE_SE
	s_and_saveexec_b32 s6, vcc_lo
	s_cbranch_execz .LBB0_9
; %bb.8:
	global_load_b32 v33, v20, s[8:9] offset:3500
	s_add_nc_u64 s[10:11], s[8:9], 0xdac
	s_clause 0x5
	global_load_b32 v39, v20, s[10:11] offset:500
	global_load_b32 v40, v20, s[10:11] offset:1000
	;; [unrolled: 1-line block ×6, first 2 shown]
	ds_load_b32 v34, v20
	v_add_nc_u32_e32 v45, 0x400, v20
	v_add_nc_u32_e32 v46, 0x800, v20
	s_wait_dscnt 0x0
	v_lshrrev_b32_e32 v35, 16, v34
	s_wait_loadcnt 0x5
	v_lshrrev_b32_e32 v47, 16, v39
	s_wait_loadcnt 0x4
	v_lshrrev_b32_e32 v48, 16, v40
	v_lshrrev_b32_e32 v36, 16, v33
	s_wait_loadcnt 0x3
	v_lshrrev_b32_e32 v49, 16, v41
	s_wait_loadcnt 0x2
	;; [unrolled: 2-line block ×4, first 2 shown]
	v_lshrrev_b32_e32 v52, 16, v44
	v_mul_f16_e32 v37, v35, v36
	v_mul_f16_e32 v36, v34, v36
	s_delay_alu instid0(VALU_DEP_2) | instskip(NEXT) | instid1(VALU_DEP_2)
	v_fma_f16 v34, v34, v33, -v37
	v_fmac_f16_e32 v36, v35, v33
	s_delay_alu instid0(VALU_DEP_1)
	v_pack_b32_f16 v33, v34, v36
	ds_store_b32 v20, v33
	ds_load_2addr_b32 v[33:34], v20 offset0:125 offset1:250
	ds_load_2addr_b32 v[35:36], v45 offset0:119 offset1:244
	;; [unrolled: 1-line block ×3, first 2 shown]
	s_wait_dscnt 0x1
	v_lshrrev_b32_e32 v57, 16, v35
	v_lshrrev_b32_e32 v53, 16, v33
	;; [unrolled: 1-line block ×4, first 2 shown]
	s_wait_dscnt 0x0
	v_lshrrev_b32_e32 v61, 16, v37
	v_lshrrev_b32_e32 v63, 16, v38
	v_mul_f16_e32 v54, v33, v47
	v_mul_f16_e32 v56, v34, v48
	;; [unrolled: 1-line block ×12, first 2 shown]
	v_fmac_f16_e32 v54, v53, v39
	v_fmac_f16_e32 v56, v55, v40
	v_fma_f16 v33, v33, v39, -v47
	v_fma_f16 v34, v34, v40, -v48
	v_fmac_f16_e32 v58, v57, v41
	v_fmac_f16_e32 v60, v59, v42
	v_fma_f16 v35, v35, v41, -v49
	v_fma_f16 v36, v36, v42, -v50
	;; [unrolled: 4-line block ×3, first 2 shown]
	v_pack_b32_f16 v33, v33, v54
	v_pack_b32_f16 v34, v34, v56
	;; [unrolled: 1-line block ×6, first 2 shown]
	ds_store_2addr_b32 v20, v33, v34 offset0:125 offset1:250
	ds_store_2addr_b32 v45, v35, v36 offset0:119 offset1:244
	ds_store_2addr_b32 v46, v37, v38 offset0:113 offset1:238
.LBB0_9:
	s_wait_alu 0xfffe
	s_or_b32 exec_lo, exec_lo, s6
	global_wb scope:SCOPE_SE
	s_wait_dscnt 0x0
	s_barrier_signal -1
	s_barrier_wait -1
	global_inv scope:SCOPE_SE
	s_and_saveexec_b32 s6, vcc_lo
	s_cbranch_execz .LBB0_11
; %bb.10:
	v_add_nc_u32_e32 v13, 0x200, v20
	v_add_nc_u32_e32 v14, 0x600, v20
	ds_load_2addr_b32 v[15:16], v20 offset1:125
	ds_load_2addr_b32 v[17:18], v13 offset0:122 offset1:247
	ds_load_2addr_b32 v[13:14], v14 offset0:116 offset1:241
	ds_load_b32 v24, v20 offset:3000
.LBB0_11:
	s_wait_alu 0xfffe
	s_or_b32 exec_lo, exec_lo, s6
	v_lshrrev_b32_e32 v36, 16, v8
	v_lshrrev_b32_e32 v35, 16, v9
	;; [unrolled: 1-line block ×4, first 2 shown]
	global_wb scope:SCOPE_SE
	s_wait_dscnt 0x0
	s_barrier_signal -1
	s_barrier_wait -1
	global_inv scope:SCOPE_SE
	s_and_saveexec_b32 s6, vcc_lo
	s_cbranch_execz .LBB0_13
; %bb.12:
	v_pk_add_f16 v37, v24, v16
	v_pk_add_f16 v38, v18, v13
	;; [unrolled: 1-line block ×3, first 2 shown]
	v_pk_add_f16 v16, v16, v24 neg_lo:[0,1] neg_hi:[0,1]
	v_pk_add_f16 v13, v13, v18 neg_lo:[0,1] neg_hi:[0,1]
	;; [unrolled: 1-line block ×3, first 2 shown]
	v_and_b32_e32 v17, 0xffff, v23
	v_bfi_b32 v23, 0xffff, v37, v38
	v_bfi_b32 v41, 0xffff, v38, v37
	v_alignbit_b32 v24, v16, v13, 16
	v_alignbit_b32 v40, v13, v14, 16
	v_bfi_b32 v42, 0xffff, v39, v38
	v_alignbit_b32 v43, v13, v16, 16
	v_alignbit_b32 v44, v14, v13, 16
	v_pk_add_f16 v18, v39, v37
	v_pk_add_f16 v24, v24, v40 neg_lo:[0,1] neg_hi:[0,1]
	v_bfi_b32 v40, 0xffff, v38, v39
	v_pk_add_f16 v41, v41, v42 neg_lo:[0,1] neg_hi:[0,1]
	v_pk_add_f16 v42, v43, v44 neg_lo:[0,1] neg_hi:[0,1]
	v_pk_add_f16 v13, v13, v14
	v_pk_mul_f16 v24, 0xb5743846, v24
	v_pk_add_f16 v23, v23, v40 neg_lo:[0,1] neg_hi:[0,1]
	v_pk_add_f16 v18, v38, v18
	v_pk_mul_f16 v38, 0x3a522b26, v41
	v_pk_add_f16 v13, v13, v16
	v_pk_fma_f16 v40, 0x3846b574, v42, v24
	v_pk_mul_f16 v43, 0x2b263a52, v23
	v_pk_mul_f16 v42, 0x3846b574, v42
	v_pk_add_f16 v15, v15, v18
	v_pk_fma_f16 v23, 0x2b263a52, v23, v38
	v_pk_add_f16 v37, v39, v37 neg_lo:[0,1] neg_hi:[0,1]
	v_pk_add_f16 v14, v14, v16 neg_lo:[0,1] neg_hi:[0,1]
	v_alignbit_b32 v16, v42, v24, 16
	v_bfi_b32 v39, 0xffff, v43, v38
	v_alignbit_b32 v24, v24, v42, 16
	v_bfi_b32 v38, 0xffff, v38, v43
	v_pk_mul_f16 v41, 0xb70e, v13 op_sel_hi:[0,1]
	v_pk_fma_f16 v18, 0xbcab, v18, v15 op_sel_hi:[0,1,1]
	v_pk_fma_f16 v16, 0xbb00, v14, v16 op_sel_hi:[0,1,1] neg_lo:[0,1,1] neg_hi:[0,1,1]
	v_pk_fma_f16 v39, 0x39e0, v37, v39 op_sel_hi:[0,1,1] neg_lo:[0,1,1] neg_hi:[0,1,1]
	;; [unrolled: 1-line block ×4, first 2 shown]
	v_pk_add_f16 v40, v41, v40 op_sel:[1,0] op_sel_hi:[0,1]
	v_pk_add_f16 v23, v23, v18
	v_pk_fma_f16 v16, 0xb70e, v13, v16 op_sel_hi:[0,1,1]
	v_pk_add_f16 v37, v39, v18
	v_pk_fma_f16 v13, 0xb70e, v13, v14 op_sel_hi:[0,1,1]
	v_pk_add_f16 v14, v24, v18
	v_pk_add_f16 v18, v23, v40
	v_pk_add_f16 v23, v23, v40 neg_lo:[0,1] neg_hi:[0,1]
	v_pk_add_f16 v24, v37, v16 op_sel:[0,1] op_sel_hi:[1,0]
	v_pk_add_f16 v16, v37, v16 op_sel:[0,1] op_sel_hi:[1,0] neg_lo:[0,1] neg_hi:[0,1]
	v_pk_add_f16 v37, v14, v13 op_sel:[0,1] op_sel_hi:[1,0] neg_lo:[0,1] neg_hi:[0,1]
	v_pk_add_f16 v13, v14, v13 op_sel:[0,1] op_sel_hi:[1,0]
	v_lshlrev_b32_e32 v14, 2, v17
	v_bfi_b32 v17, 0xffff, v18, v23
	v_bfi_b32 v38, 0xffff, v24, v16
	;; [unrolled: 1-line block ×6, first 2 shown]
	ds_store_2addr_b32 v14, v15, v17 offset1:1
	ds_store_2addr_b32 v14, v38, v39 offset0:2 offset1:3
	ds_store_2addr_b32 v14, v13, v16 offset0:4 offset1:5
	ds_store_b32 v14, v18 offset:24
.LBB0_13:
	s_wait_alu 0xfffe
	s_or_b32 exec_lo, exec_lo, s6
	global_wb scope:SCOPE_SE
	s_wait_dscnt 0x0
	s_barrier_signal -1
	s_barrier_wait -1
	global_inv scope:SCOPE_SE
	ds_load_2addr_b32 v[14:15], v20 offset1:175
	v_add_nc_u32_e32 v13, 0x500, v20
	ds_load_b32 v18, v20 offset:2800
	ds_load_2addr_b32 v[16:17], v13 offset0:30 offset1:205
	global_wb scope:SCOPE_SE
	s_wait_dscnt 0x0
	s_barrier_signal -1
	s_barrier_wait -1
	global_inv scope:SCOPE_SE
	v_lshrrev_b32_e32 v24, 16, v15
	v_mul_f16_e32 v38, v27, v15
	v_lshrrev_b32_e32 v23, 16, v14
	v_lshrrev_b32_e32 v37, 16, v18
	;; [unrolled: 1-line block ×4, first 2 shown]
	v_mul_f16_e32 v27, v27, v24
	v_fma_f16 v24, v0, v24, -v38
	v_mul_f16_e32 v42, v25, v17
	v_mul_f16_e32 v39, v28, v18
	;; [unrolled: 1-line block ×3, first 2 shown]
	v_fmac_f16_e32 v27, v0, v15
	v_mul_f16_e32 v0, v26, v40
	v_mul_f16_e32 v28, v28, v37
	;; [unrolled: 1-line block ×3, first 2 shown]
	v_fmac_f16_e32 v25, v2, v17
	v_fma_f16 v37, v3, v37, -v39
	v_fmac_f16_e32 v0, v1, v16
	v_fmac_f16_e32 v28, v3, v18
	v_fma_f16 v15, v1, v40, -v38
	v_fma_f16 v26, v2, v41, -v42
	v_sub_f16_e32 v3, v24, v37
	v_add_f16_e32 v39, v0, v25
	v_add_f16_e32 v16, v27, v28
	;; [unrolled: 1-line block ×3, first 2 shown]
	v_sub_f16_e32 v38, v27, v28
	v_sub_f16_e32 v40, v27, v0
	;; [unrolled: 1-line block ×4, first 2 shown]
	v_fma_f16 v39, -0.5, v39, v14
	v_add_f16_e32 v18, v23, v24
	v_sub_f16_e32 v2, v15, v26
	v_fmac_f16_e32 v14, -0.5, v16
	v_add_f16_e32 v16, v27, v42
	v_fmamk_f16 v27, v3, 0xbb9c, v39
	v_fmac_f16_e32 v39, 0x3b9c, v3
	v_add_f16_e32 v17, v18, v15
	v_add_f16_e32 v18, v15, v26
	v_fmamk_f16 v42, v2, 0x3b9c, v14
	v_fmac_f16_e32 v14, 0xbb9c, v2
	v_fmac_f16_e32 v27, 0xb8b4, v2
	v_fmac_f16_e32 v39, 0x38b4, v2
	v_add_f16_e32 v2, v24, v37
	v_sub_f16_e32 v41, v28, v25
	v_fma_f16 v18, -0.5, v18, v23
	v_fmac_f16_e32 v42, 0xb8b4, v3
	v_fmac_f16_e32 v14, 0x38b4, v3
	v_add_f16_e32 v1, v1, v0
	v_sub_f16_e32 v0, v0, v25
	v_fmac_f16_e32 v23, -0.5, v2
	v_add_f16_e32 v40, v40, v41
	v_fmamk_f16 v41, v38, 0x3b9c, v18
	v_fmac_f16_e32 v42, 0x34f2, v16
	v_fmac_f16_e32 v14, 0x34f2, v16
	v_sub_f16_e32 v2, v24, v15
	v_sub_f16_e32 v16, v37, v26
	v_add_f16_e32 v3, v17, v26
	v_fmac_f16_e32 v18, 0xbb9c, v38
	v_fmamk_f16 v17, v0, 0xbb9c, v23
	v_sub_f16_e32 v15, v15, v24
	v_sub_f16_e32 v24, v26, v37
	v_fmac_f16_e32 v23, 0x3b9c, v0
	v_add_f16_e32 v1, v1, v25
	v_fmac_f16_e32 v41, 0x38b4, v0
	v_add_f16_e32 v2, v2, v16
	v_fmac_f16_e32 v18, 0xb8b4, v0
	v_fmac_f16_e32 v17, 0x38b4, v38
	v_add_f16_e32 v0, v15, v24
	v_fmac_f16_e32 v23, 0xb8b4, v38
	v_add_f16_e32 v1, v1, v28
	;; [unrolled: 2-line block ×3, first 2 shown]
	v_fmac_f16_e32 v41, 0x34f2, v2
	v_fmac_f16_e32 v17, 0x34f2, v0
	;; [unrolled: 1-line block ×5, first 2 shown]
	v_pack_b32_f16 v0, v1, v3
	v_pack_b32_f16 v1, v27, v41
	;; [unrolled: 1-line block ×5, first 2 shown]
	ds_store_2addr_b32 v21, v0, v1 offset1:7
	ds_store_2addr_b32 v21, v2, v3 offset0:14 offset1:21
	ds_store_b32 v21, v14 offset:112
	global_wb scope:SCOPE_SE
	s_wait_dscnt 0x0
	s_barrier_signal -1
	s_barrier_wait -1
	global_inv scope:SCOPE_SE
	ds_load_2addr_b32 v[0:1], v13 offset0:30 offset1:205
	ds_load_2addr_b32 v[2:3], v20 offset1:175
	ds_load_b32 v14, v20 offset:2800
	global_wb scope:SCOPE_SE
	s_wait_dscnt 0x0
	s_barrier_signal -1
	s_barrier_wait -1
	global_inv scope:SCOPE_SE
	v_lshrrev_b32_e32 v15, 16, v0
	v_lshrrev_b32_e32 v16, 16, v1
	;; [unrolled: 1-line block ×4, first 2 shown]
	v_mul_f16_e32 v25, v31, v3
	v_mul_f16_e32 v18, v32, v15
	;; [unrolled: 1-line block ×5, first 2 shown]
	s_delay_alu instid0(VALU_DEP_4)
	v_fmac_f16_e32 v18, v5, v0
	v_mul_f16_e32 v0, v32, v0
	v_fmac_f16_e32 v23, v6, v1
	v_fmac_f16_e32 v24, v4, v3
	v_fma_f16 v3, v4, v17, -v25
	v_mul_f16_e32 v1, v29, v1
	v_fma_f16 v0, v5, v15, -v0
	v_add_f16_e32 v4, v18, v23
	v_fma_f16 v5, v7, v21, -v26
	v_mul_f16_e32 v15, v30, v21
	v_add_f16_e32 v17, v2, v24
	v_fma_f16 v1, v6, v16, -v1
	v_fma_f16 v4, -0.5, v4, v2
	v_sub_f16_e32 v21, v3, v5
	v_fmac_f16_e32 v15, v7, v14
	v_add_f16_e32 v7, v17, v18
	v_sub_f16_e32 v16, v0, v1
	v_sub_f16_e32 v17, v24, v18
	v_fmamk_f16 v14, v21, 0xbb9c, v4
	v_sub_f16_e32 v25, v15, v23
	v_fmac_f16_e32 v4, 0x3b9c, v21
	v_add_f16_e32 v26, v24, v15
	v_lshrrev_b32_e32 v6, 16, v2
	v_fmac_f16_e32 v14, 0xb8b4, v16
	v_add_f16_e32 v17, v17, v25
	v_fmac_f16_e32 v4, 0x38b4, v16
	v_fmac_f16_e32 v2, -0.5, v26
	v_add_f16_e32 v7, v7, v23
	v_sub_f16_e32 v26, v18, v24
	v_sub_f16_e32 v27, v23, v15
	v_fmac_f16_e32 v14, 0x34f2, v17
	v_fmac_f16_e32 v4, 0x34f2, v17
	v_fmamk_f16 v17, v16, 0x3b9c, v2
	v_add_f16_e32 v25, v0, v1
	v_fmac_f16_e32 v2, 0xbb9c, v16
	v_add_f16_e32 v7, v7, v15
	v_add_f16_e32 v16, v6, v3
	v_sub_f16_e32 v15, v24, v15
	v_add_f16_e32 v24, v26, v27
	v_add_f16_e32 v26, v3, v5
	v_fma_f16 v25, -0.5, v25, v6
	v_fmac_f16_e32 v17, 0xb8b4, v21
	v_fmac_f16_e32 v2, 0x38b4, v21
	v_add_f16_e32 v16, v16, v0
	v_sub_f16_e32 v18, v18, v23
	v_fmac_f16_e32 v6, -0.5, v26
	v_fmamk_f16 v21, v15, 0x3b9c, v25
	v_fmac_f16_e32 v17, 0x34f2, v24
	v_fmac_f16_e32 v2, 0x34f2, v24
	v_sub_f16_e32 v23, v3, v0
	v_sub_f16_e32 v24, v5, v1
	v_add_f16_e32 v16, v16, v1
	v_fmamk_f16 v26, v18, 0xbb9c, v6
	v_sub_f16_e32 v0, v0, v3
	v_sub_f16_e32 v1, v1, v5
	v_fmac_f16_e32 v6, 0x3b9c, v18
	v_fmac_f16_e32 v25, 0xbb9c, v15
	;; [unrolled: 1-line block ×3, first 2 shown]
	v_add_f16_e32 v3, v23, v24
	v_fmac_f16_e32 v26, 0x38b4, v15
	v_add_f16_e32 v0, v0, v1
	v_fmac_f16_e32 v6, 0xb8b4, v15
	v_fmac_f16_e32 v25, 0xb8b4, v18
	v_add_f16_e32 v1, v16, v5
	v_fmac_f16_e32 v21, 0x34f2, v3
	v_fmac_f16_e32 v26, 0x34f2, v0
	;; [unrolled: 1-line block ×4, first 2 shown]
	v_pack_b32_f16 v0, v7, v1
	v_pack_b32_f16 v1, v14, v21
	v_pack_b32_f16 v3, v17, v26
	v_pack_b32_f16 v2, v2, v6
	v_pack_b32_f16 v4, v4, v25
	ds_store_2addr_b32 v22, v0, v1 offset1:35
	ds_store_2addr_b32 v22, v3, v2 offset0:70 offset1:105
	ds_store_b32 v22, v4 offset:560
	global_wb scope:SCOPE_SE
	s_wait_dscnt 0x0
	s_barrier_signal -1
	s_barrier_wait -1
	global_inv scope:SCOPE_SE
	ds_load_2addr_b32 v[0:1], v13 offset0:30 offset1:205
	ds_load_2addr_b32 v[2:3], v20 offset1:175
	ds_load_b32 v4, v20 offset:2800
	s_wait_dscnt 0x2
	v_lshrrev_b32_e32 v5, 16, v0
	v_lshrrev_b32_e32 v6, 16, v1
	s_wait_dscnt 0x1
	v_lshrrev_b32_e32 v7, 16, v3
	s_wait_dscnt 0x0
	v_lshrrev_b32_e32 v15, 16, v4
	v_mul_f16_e32 v18, v36, v3
	v_mul_f16_e32 v14, v35, v5
	;; [unrolled: 1-line block ×5, first 2 shown]
	s_delay_alu instid0(VALU_DEP_4)
	v_fmac_f16_e32 v14, v9, v0
	v_mul_f16_e32 v0, v35, v0
	v_fmac_f16_e32 v16, v10, v1
	v_fmac_f16_e32 v17, v8, v3
	v_fma_f16 v3, v8, v7, -v18
	v_mul_f16_e32 v8, v34, v15
	v_fma_f16 v0, v9, v5, -v0
	v_add_f16_e32 v5, v14, v16
	v_fma_f16 v7, v11, v15, -v21
	v_mul_f16_e32 v1, v33, v1
	v_fmac_f16_e32 v8, v11, v4
	v_add_f16_e32 v9, v2, v17
	v_fma_f16 v5, -0.5, v5, v2
	v_sub_f16_e32 v15, v3, v7
	v_fma_f16 v1, v10, v6, -v1
	v_add_f16_e32 v10, v17, v8
	v_add_f16_e32 v6, v9, v14
	v_sub_f16_e32 v18, v17, v14
	v_fmamk_f16 v9, v15, 0xbb9c, v5
	v_sub_f16_e32 v11, v0, v1
	v_sub_f16_e32 v21, v8, v16
	v_fmac_f16_e32 v5, 0x3b9c, v15
	v_lshrrev_b32_e32 v4, 16, v2
	v_fmac_f16_e32 v2, -0.5, v10
	v_fmac_f16_e32 v9, 0xb8b4, v11
	v_add_f16_e32 v10, v18, v21
	v_fmac_f16_e32 v5, 0x38b4, v11
	v_add_f16_e32 v6, v6, v16
	v_fmamk_f16 v18, v11, 0x3b9c, v2
	v_fmac_f16_e32 v2, 0xbb9c, v11
	v_fmac_f16_e32 v9, 0x34f2, v10
	;; [unrolled: 1-line block ×3, first 2 shown]
	v_add_f16_e32 v10, v0, v1
	v_fmac_f16_e32 v18, 0xb8b4, v15
	v_sub_f16_e32 v21, v14, v17
	v_sub_f16_e32 v22, v16, v8
	v_add_f16_e32 v11, v4, v3
	v_fmac_f16_e32 v2, 0x38b4, v15
	v_add_f16_e32 v15, v3, v7
	v_add_f16_e32 v6, v6, v8
	v_fma_f16 v10, -0.5, v10, v4
	v_sub_f16_e32 v8, v17, v8
	v_add_f16_e32 v17, v21, v22
	v_add_f16_e32 v11, v11, v0
	v_sub_f16_e32 v14, v14, v16
	v_fmac_f16_e32 v4, -0.5, v15
	v_fmamk_f16 v21, v8, 0x3b9c, v10
	v_sub_f16_e32 v15, v3, v0
	v_sub_f16_e32 v16, v7, v1
	v_fmac_f16_e32 v18, 0x34f2, v17
	v_fmac_f16_e32 v2, 0x34f2, v17
	v_add_f16_e32 v11, v11, v1
	v_fmamk_f16 v17, v14, 0xbb9c, v4
	v_sub_f16_e32 v0, v0, v3
	v_sub_f16_e32 v1, v1, v7
	v_fmac_f16_e32 v4, 0x3b9c, v14
	v_fmac_f16_e32 v10, 0xbb9c, v8
	;; [unrolled: 1-line block ×3, first 2 shown]
	v_add_f16_e32 v3, v15, v16
	v_fmac_f16_e32 v17, 0x38b4, v8
	v_add_f16_e32 v0, v0, v1
	v_fmac_f16_e32 v4, 0xb8b4, v8
	v_fmac_f16_e32 v10, 0xb8b4, v14
	v_add_f16_e32 v1, v11, v7
	v_fmac_f16_e32 v21, 0x34f2, v3
	v_fmac_f16_e32 v17, 0x34f2, v0
	;; [unrolled: 1-line block ×4, first 2 shown]
	v_pack_b32_f16 v0, v6, v1
	v_pack_b32_f16 v1, v9, v21
	;; [unrolled: 1-line block ×5, first 2 shown]
	ds_store_2addr_b32 v20, v0, v1 offset1:175
	ds_store_2addr_b32 v13, v3, v2 offset0:30 offset1:205
	ds_store_b32 v20, v4 offset:2800
	global_wb scope:SCOPE_SE
	s_wait_dscnt 0x0
	s_barrier_signal -1
	s_barrier_wait -1
	global_inv scope:SCOPE_SE
	s_and_b32 exec_lo, exec_lo, vcc_lo
	s_cbranch_execz .LBB0_15
; %bb.14:
	s_clause 0x6
	global_load_b32 v0, v20, s[8:9]
	global_load_b32 v14, v20, s[8:9] offset:500
	global_load_b32 v15, v20, s[8:9] offset:1000
	;; [unrolled: 1-line block ×6, first 2 shown]
	ds_load_2addr_b32 v[3:4], v20 offset0:125 offset1:250
	v_mad_co_u64_u32 v[1:2], null, s2, v12, 0
	v_add_nc_u32_e32 v9, 0x800, v20
	ds_load_b32 v16, v20
	v_mad_co_u64_u32 v[5:6], null, s0, v19, 0
	s_mov_b32 s22, 0x835d548e
	s_mov_b32 s23, 0x3f52b97d
	s_mul_u64 s[20:21], s[0:1], 0x1f4
	s_wait_dscnt 0x1
	v_mad_co_u64_u32 v[11:12], null, s3, v12, v[2:3]
	v_add_nc_u32_e32 v7, 0x400, v20
	v_lshrrev_b32_e32 v17, 16, v3
	v_lshrrev_b32_e32 v18, 16, v4
	s_delay_alu instid0(VALU_DEP_4)
	v_mov_b32_e32 v2, v11
	ds_load_2addr_b32 v[7:8], v7 offset0:119 offset1:244
	ds_load_2addr_b32 v[9:10], v9 offset0:113 offset1:238
	s_wait_dscnt 0x1
	v_mad_co_u64_u32 v[12:13], null, s1, v19, v[6:7]
	v_lshrrev_b32_e32 v13, 16, v16
	v_lshrrev_b32_e32 v19, 16, v7
	;; [unrolled: 1-line block ×3, first 2 shown]
	s_wait_dscnt 0x0
	v_lshrrev_b32_e32 v24, 16, v9
	v_lshrrev_b32_e32 v34, 16, v10
	v_mov_b32_e32 v6, v12
	s_delay_alu instid0(VALU_DEP_1)
	v_lshlrev_b64_e32 v[5:6], 2, v[5:6]
	s_wait_loadcnt 0x6
	v_lshrrev_b32_e32 v11, 16, v0
	s_wait_loadcnt 0x5
	v_lshrrev_b32_e32 v12, 16, v14
	;; [unrolled: 2-line block ×5, first 2 shown]
	v_mul_f16_e32 v29, v13, v11
	v_mul_f16_e32 v11, v16, v11
	;; [unrolled: 1-line block ×5, first 2 shown]
	v_fmac_f16_e32 v29, v16, v0
	v_fma_f16 v0, v0, v13, -v11
	v_fmac_f16_e32 v30, v3, v14
	v_fma_f16 v3, v14, v17, -v12
	v_mul_f16_e32 v16, v4, v25
	v_cvt_f32_f16_e32 v11, v29
	v_cvt_f32_f16_e32 v0, v0
	;; [unrolled: 1-line block ×3, first 2 shown]
	v_fmac_f16_e32 v31, v4, v15
	v_cvt_f32_f16_e32 v30, v3
	v_cvt_f64_f32_e32 v[11:12], v11
	v_cvt_f64_f32_e32 v[13:14], v0
	;; [unrolled: 1-line block ×3, first 2 shown]
	v_mul_f16_e32 v25, v19, v26
	v_cvt_f32_f16_e32 v17, v31
	v_fma_f16 v31, v15, v18, -v16
	v_cvt_f64_f32_e32 v[15:16], v30
	v_mul_f16_e32 v26, v7, v26
	v_mul_f16_e32 v29, v20, v27
	v_fmac_f16_e32 v25, v7, v21
	v_cvt_f64_f32_e32 v[17:18], v17
	v_cvt_f32_f16_e32 v7, v31
	s_wait_loadcnt 0x1
	v_lshrrev_b32_e32 v28, 16, v23
	v_mul_f16_e32 v0, v8, v27
	v_cvt_f32_f16_e32 v25, v25
	v_fma_f16 v21, v21, v19, -v26
	v_fmac_f16_e32 v29, v8, v22
	v_cvt_f64_f32_e32 v[7:8], v7
	v_mul_f16_e32 v27, v24, v28
	v_mul_f16_e32 v28, v9, v28
	v_fma_f16 v0, v22, v20, -v0
	v_cvt_f64_f32_e32 v[19:20], v25
	v_cvt_f32_f16_e32 v21, v21
	s_wait_loadcnt 0x0
	v_lshrrev_b32_e32 v35, 16, v33
	v_fmac_f16_e32 v27, v9, v23
	v_fma_f16 v9, v23, v24, -v28
	v_cvt_f32_f16_e32 v23, v29
	v_cvt_f64_f32_e32 v[21:22], v21
	v_mul_f16_e32 v30, v34, v35
	v_cvt_f32_f16_e32 v25, v0
	v_lshlrev_b64_e32 v[0:1], 2, v[1:2]
	v_cvt_f64_f32_e32 v[23:24], v23
	v_cvt_f32_f16_e32 v9, v9
	v_fmac_f16_e32 v30, v10, v33
	v_cvt_f32_f16_e32 v27, v27
	v_cvt_f64_f32_e32 v[25:26], v25
	v_add_co_u32 v2, vcc_lo, s4, v0
	v_mul_f64_e32 v[11:12], s[22:23], v[11:12]
	v_mul_f64_e32 v[13:14], s[22:23], v[13:14]
	v_cvt_f32_f16_e32 v31, v30
	v_cvt_f64_f32_e32 v[29:30], v9
	v_add_co_ci_u32_e32 v9, vcc_lo, s5, v1, vcc_lo
	v_mul_f64_e32 v[0:1], s[22:23], v[3:4]
	v_cvt_f64_f32_e32 v[27:28], v27
	v_add_co_u32 v2, vcc_lo, v2, v5
	v_mul_f64_e32 v[4:5], s[22:23], v[15:16]
	s_wait_alu 0xfffd
	v_add_co_ci_u32_e32 v3, vcc_lo, v9, v6, vcc_lo
	v_mul_f16_e32 v6, v10, v35
	v_mul_f64_e32 v[9:10], s[22:23], v[17:18]
	v_add_co_u32 v15, vcc_lo, v2, s20
	s_wait_alu 0xfffd
	v_add_co_ci_u32_e32 v16, vcc_lo, s21, v3, vcc_lo
	v_fma_f16 v33, v33, v34, -v6
	v_mul_f64_e32 v[6:7], s[22:23], v[7:8]
	v_mul_f64_e32 v[17:18], s[22:23], v[19:20]
	v_add_co_u32 v19, vcc_lo, v15, s20
	s_delay_alu instid0(VALU_DEP_4)
	v_cvt_f32_f16_e32 v8, v33
	s_wait_alu 0xfffd
	v_add_co_ci_u32_e32 v20, vcc_lo, s21, v16, vcc_lo
	v_mul_f64_e32 v[21:22], s[22:23], v[21:22]
	v_add_co_u32 v33, vcc_lo, v19, s20
	v_cvt_f64_f32_e32 v[35:36], v8
	v_mul_f64_e32 v[23:24], s[22:23], v[23:24]
	s_wait_alu 0xfffd
	v_add_co_ci_u32_e32 v34, vcc_lo, s21, v20, vcc_lo
	v_cvt_f64_f32_e32 v[31:32], v31
	v_mul_f64_e32 v[25:26], s[22:23], v[25:26]
	v_and_or_b32 v8, 0x1ff, v12, v11
	v_and_or_b32 v13, 0x1ff, v14, v13
	v_lshrrev_b32_e32 v11, 8, v12
	v_bfe_u32 v37, v12, 20, 11
	v_lshrrev_b32_e32 v38, 8, v14
	v_cmp_ne_u32_e32 vcc_lo, 0, v8
	v_and_or_b32 v0, 0x1ff, v1, v0
	v_mul_f64_e32 v[27:28], s[22:23], v[27:28]
	v_bfe_u32 v39, v14, 20, 11
	v_lshrrev_b32_e32 v40, 8, v1
	s_wait_alu 0xfffd
	v_cndmask_b32_e64 v8, 0, 1, vcc_lo
	v_cmp_ne_u32_e32 vcc_lo, 0, v13
	v_and_or_b32 v4, 0x1ff, v5, v4
	v_bfe_u32 v41, v1, 20, 11
	v_and_or_b32 v9, 0x1ff, v10, v9
	v_and_or_b32 v8, 0xffe, v11, v8
	s_wait_alu 0xfffd
	v_cndmask_b32_e64 v13, 0, 1, vcc_lo
	v_cmp_ne_u32_e32 vcc_lo, 0, v0
	v_bfe_u32 v43, v5, 20, 11
	v_sub_nc_u32_e32 v58, 0x3f1, v37
	v_and_or_b32 v6, 0x1ff, v7, v6
	v_and_or_b32 v17, 0x1ff, v18, v17
	s_wait_alu 0xfffd
	v_cndmask_b32_e64 v0, 0, 1, vcc_lo
	v_cmp_ne_u32_e32 vcc_lo, 0, v4
	v_add_nc_u32_e32 v37, 0xfffffc10, v37
	v_sub_nc_u32_e32 v59, 0x3f1, v39
	v_and_or_b32 v13, 0xffe, v38, v13
	v_and_or_b32 v21, 0x1ff, v22, v21
	s_wait_alu 0xfffd
	v_cndmask_b32_e64 v4, 0, 1, vcc_lo
	v_cmp_ne_u32_e32 vcc_lo, 0, v9
	v_lshrrev_b32_e32 v42, 8, v5
	v_and_or_b32 v23, 0x1ff, v24, v23
	v_bfe_u32 v45, v10, 20, 11
	v_bfe_u32 v47, v7, 20, 11
	s_wait_alu 0xfffd
	v_cndmask_b32_e64 v9, 0, 1, vcc_lo
	v_cmp_ne_u32_e32 vcc_lo, 0, v6
	v_and_or_b32 v25, 0x1ff, v26, v25
	v_add_nc_u32_e32 v39, 0xfffffc10, v39
	v_sub_nc_u32_e32 v60, 0x3f1, v41
	v_sub_nc_u32_e32 v61, 0x3f1, v43
	s_wait_alu 0xfffd
	v_cndmask_b32_e64 v6, 0, 1, vcc_lo
	v_cmp_ne_u32_e32 vcc_lo, 0, v17
	v_med3_i32 v11, v58, 0, 13
	v_med3_i32 v38, v59, 0, 13
	v_and_or_b32 v0, 0xffe, v40, v0
	v_and_or_b32 v27, 0x1ff, v28, v27
	s_wait_alu 0xfffd
	v_cndmask_b32_e64 v17, 0, 1, vcc_lo
	v_cmp_ne_u32_e32 vcc_lo, 0, v21
	v_or_b32_e32 v58, 0x1000, v8
	v_lshl_or_b32 v59, v37, 12, v8
	v_lshrrev_b32_e32 v44, 8, v10
	v_lshrrev_b32_e32 v46, 8, v7
	s_wait_alu 0xfffd
	v_cndmask_b32_e64 v21, 0, 1, vcc_lo
	v_cmp_ne_u32_e32 vcc_lo, 0, v23
	v_bfe_u32 v49, v18, 20, 11
	v_bfe_u32 v51, v22, 20, 11
	v_add_nc_u32_e32 v41, 0xfffffc10, v41
	v_sub_nc_u32_e32 v62, 0x3f1, v45
	s_wait_alu 0xfffd
	v_cndmask_b32_e64 v23, 0, 1, vcc_lo
	v_cmp_ne_u32_e32 vcc_lo, 0, v25
	v_sub_nc_u32_e32 v63, 0x3f1, v47
	v_med3_i32 v40, v60, 0, 13
	v_and_or_b32 v4, 0xffe, v42, v4
	v_med3_i32 v42, v61, 0, 13
	s_wait_alu 0xfffd
	v_cndmask_b32_e64 v25, 0, 1, vcc_lo
	v_cmp_ne_u32_e32 vcc_lo, 0, v27
	v_or_b32_e32 v60, 0x1000, v13
	v_lshl_or_b32 v61, v39, 12, v13
	v_lshrrev_b32_e32 v48, 8, v18
	v_lshrrev_b32_e32 v50, 8, v22
	s_wait_alu 0xfffd
	v_cndmask_b32_e64 v27, 0, 1, vcc_lo
	v_cmp_ne_u32_e32 vcc_lo, 0, v8
	v_bfe_u32 v53, v24, 20, 11
	v_bfe_u32 v55, v26, 20, 11
	v_add_nc_u32_e32 v43, 0xfffffc10, v43
	v_sub_nc_u32_e32 v64, 0x3f1, v49
	s_wait_alu 0xfffd
	v_cndmask_b32_e64 v8, 0, 1, vcc_lo
	v_cmp_ne_u32_e32 vcc_lo, 0, v13
	v_sub_nc_u32_e32 v65, 0x3f1, v51
	v_and_or_b32 v9, 0xffe, v44, v9
	v_med3_i32 v44, v62, 0, 13
	v_and_or_b32 v6, 0xffe, v46, v6
	s_wait_alu 0xfffd
	v_cndmask_b32_e64 v13, 0, 1, vcc_lo
	v_cmp_ne_u32_e32 vcc_lo, 0, v0
	v_med3_i32 v46, v63, 0, 13
	v_or_b32_e32 v62, 0x1000, v0
	v_lshl_or_b32 v63, v41, 12, v0
	v_lshrrev_b32_e32 v52, 8, v24
	s_wait_alu 0xfffd
	v_cndmask_b32_e64 v0, 0, 1, vcc_lo
	v_cmp_ne_u32_e32 vcc_lo, 0, v4
	v_lshrrev_b32_e32 v54, 8, v26
	v_bfe_u32 v57, v28, 20, 11
	v_add_nc_u32_e32 v45, 0xfffffc10, v45
	v_sub_nc_u32_e32 v66, 0x3f1, v53
	v_sub_nc_u32_e32 v67, 0x3f1, v55
	v_and_or_b32 v17, 0xffe, v48, v17
	v_med3_i32 v48, v64, 0, 13
	v_and_or_b32 v21, 0xffe, v50, v21
	v_med3_i32 v50, v65, 0, 13
	v_or_b32_e32 v64, 0x1000, v4
	v_lshl_or_b32 v65, v43, 12, v4
	s_wait_alu 0xfffd
	v_cndmask_b32_e64 v4, 0, 1, vcc_lo
	v_cmp_ne_u32_e32 vcc_lo, 0, v9
	v_lshrrev_b32_e32 v56, 8, v28
	v_add_nc_u32_e32 v47, 0xfffffc10, v47
	v_sub_nc_u32_e32 v68, 0x3f1, v57
	v_and_or_b32 v23, 0xffe, v52, v23
	v_med3_i32 v52, v66, 0, 13
	v_and_or_b32 v25, 0xffe, v54, v25
	v_med3_i32 v54, v67, 0, 13
	v_or_b32_e32 v66, 0x1000, v9
	v_lshl_or_b32 v67, v45, 12, v9
	s_wait_alu 0xfffd
	v_cndmask_b32_e64 v9, 0, 1, vcc_lo
	v_cmp_ne_u32_e32 vcc_lo, 0, v6
	v_add_nc_u32_e32 v49, 0xfffffc10, v49
	v_and_or_b32 v27, 0xffe, v56, v27
	v_med3_i32 v56, v68, 0, 13
	v_or_b32_e32 v68, 0x1000, v6
	v_lshl_or_b32 v69, v47, 12, v6
	s_wait_alu 0xfffd
	v_cndmask_b32_e64 v6, 0, 1, vcc_lo
	v_cmp_ne_u32_e32 vcc_lo, 0, v17
	v_add_nc_u32_e32 v51, 0xfffffc10, v51
	v_or_b32_e32 v70, 0x1000, v17
	v_lshl_or_b32 v71, v49, 12, v17
	v_add_nc_u32_e32 v53, 0xfffffc10, v53
	s_wait_alu 0xfffd
	v_cndmask_b32_e64 v17, 0, 1, vcc_lo
	v_cmp_ne_u32_e32 vcc_lo, 0, v21
	v_or_b32_e32 v72, 0x1000, v21
	v_lshl_or_b32 v73, v51, 12, v21
	v_lshrrev_b32_e32 v80, v11, v58
	v_add_nc_u32_e32 v55, 0xfffffc10, v55
	s_wait_alu 0xfffd
	v_cndmask_b32_e64 v21, 0, 1, vcc_lo
	v_cmp_ne_u32_e32 vcc_lo, 0, v23
	v_or_b32_e32 v74, 0x1000, v23
	v_lshl_or_b32 v75, v53, 12, v23
	v_lshl_or_b32 v8, v8, 9, 0x7c00
	v_add_nc_u32_e32 v57, 0xfffffc10, v57
	s_wait_alu 0xfffd
	v_cndmask_b32_e64 v23, 0, 1, vcc_lo
	v_cmp_ne_u32_e32 vcc_lo, 0, v25
	v_lshrrev_b32_e32 v81, v38, v60
	v_lshlrev_b32_e32 v11, v11, v80
	v_or_b32_e32 v76, 0x1000, v25
	v_lshl_or_b32 v77, v55, 12, v25
	s_wait_alu 0xfffd
	v_cndmask_b32_e64 v25, 0, 1, vcc_lo
	v_lshl_or_b32 v79, v57, 12, v27
	v_lshrrev_b32_e32 v82, v40, v62
	v_cmp_ne_u32_e32 vcc_lo, v11, v58
	v_lshlrev_b32_e32 v38, v38, v81
	v_lshl_or_b32 v13, v13, 9, 0x7c00
	v_lshrrev_b32_e32 v83, v42, v64
	v_lshlrev_b32_e32 v40, v40, v82
	s_wait_alu 0xfffd
	v_cndmask_b32_e64 v58, 0, 1, vcc_lo
	v_cmp_ne_u32_e32 vcc_lo, v38, v60
	v_lshrrev_b32_e32 v84, v44, v66
	v_lshl_or_b32 v9, v9, 9, 0x7c00
	v_lshlrev_b32_e32 v42, v42, v83
	v_lshrrev_b32_e32 v85, v46, v68
	s_wait_alu 0xfffd
	v_cndmask_b32_e64 v38, 0, 1, vcc_lo
	v_cmp_ne_u32_e32 vcc_lo, v40, v62
	v_lshl_or_b32 v21, v21, 9, 0x7c00
	v_lshlrev_b32_e32 v44, v44, v84
	v_lshrrev_b32_e32 v86, v48, v70
	v_lshl_or_b32 v23, v23, 9, 0x7c00
	s_wait_alu 0xfffd
	v_cndmask_b32_e64 v40, 0, 1, vcc_lo
	v_cmp_ne_u32_e32 vcc_lo, v42, v64
	v_lshlrev_b32_e32 v46, v46, v85
	v_lshrrev_b32_e32 v87, v50, v72
	v_lshl_or_b32 v25, v25, 9, 0x7c00
	v_lshlrev_b32_e32 v48, v48, v86
	s_wait_alu 0xfffd
	v_cndmask_b32_e64 v42, 0, 1, vcc_lo
	v_cmp_ne_u32_e32 vcc_lo, v44, v66
	v_lshl_or_b32 v17, v17, 9, 0x7c00
	v_lshrrev_b32_e32 v88, v52, v74
	v_lshlrev_b32_e32 v50, v50, v87
	v_or_b32_e32 v78, 0x1000, v27
	s_wait_alu 0xfffd
	v_cndmask_b32_e64 v44, 0, 1, vcc_lo
	v_cmp_ne_u32_e32 vcc_lo, v46, v68
	v_lshrrev_b32_e32 v89, v54, v76
	v_lshlrev_b32_e32 v52, v52, v88
	v_lshrrev_b32_e32 v11, v56, v78
	v_or_b32_e32 v58, v80, v58
	s_wait_alu 0xfffd
	v_cndmask_b32_e64 v46, 0, 1, vcc_lo
	v_cmp_ne_u32_e32 vcc_lo, v48, v70
	v_lshlrev_b32_e32 v54, v54, v89
	v_lshlrev_b32_e32 v56, v56, v11
	v_or_b32_e32 v38, v81, v38
	v_or_b32_e32 v40, v82, v40
	s_wait_alu 0xfffd
	v_cndmask_b32_e64 v48, 0, 1, vcc_lo
	v_cmp_ne_u32_e32 vcc_lo, v50, v72
	v_or_b32_e32 v42, v83, v42
	v_or_b32_e32 v44, v84, v44
	;; [unrolled: 1-line block ×4, first 2 shown]
	s_wait_alu 0xfffd
	v_cndmask_b32_e64 v50, 0, 1, vcc_lo
	v_cmp_ne_u32_e32 vcc_lo, v52, v74
	v_mul_f64_e32 v[29:30], s[22:23], v[29:30]
	v_lshl_or_b32 v0, v0, 9, 0x7c00
	v_lshl_or_b32 v4, v4, 9, 0x7c00
	v_or_b32_e32 v50, v87, v50
	s_wait_alu 0xfffd
	v_cndmask_b32_e64 v52, 0, 1, vcc_lo
	v_cmp_ne_u32_e32 vcc_lo, v54, v76
	v_lshrrev_b32_e32 v12, 16, v12
	v_lshl_or_b32 v6, v6, 9, 0x7c00
	v_mul_f64_e32 v[31:32], s[22:23], v[31:32]
	v_or_b32_e32 v52, v88, v52
	s_wait_alu 0xfffd
	v_cndmask_b32_e64 v54, 0, 1, vcc_lo
	v_cmp_ne_u32_e32 vcc_lo, v56, v78
	v_lshrrev_b32_e32 v1, 16, v1
	v_lshrrev_b32_e32 v14, 16, v14
	;; [unrolled: 1-line block ×3, first 2 shown]
	v_or_b32_e32 v54, v89, v54
	s_wait_alu 0xfffd
	v_cndmask_b32_e64 v56, 0, 1, vcc_lo
	v_cmp_gt_i32_e32 vcc_lo, 1, v37
	v_lshrrev_b32_e32 v10, 16, v10
	v_lshrrev_b32_e32 v7, 16, v7
	;; [unrolled: 1-line block ×3, first 2 shown]
	v_or_b32_e32 v11, v11, v56
	s_wait_alu 0xfffd
	v_cndmask_b32_e32 v56, v59, v58, vcc_lo
	v_cmp_gt_i32_e32 vcc_lo, 1, v39
	v_lshrrev_b32_e32 v26, 16, v26
	v_lshrrev_b32_e32 v18, 16, v18
	;; [unrolled: 1-line block ×3, first 2 shown]
	v_and_b32_e32 v58, 7, v56
	s_wait_alu 0xfffd
	v_cndmask_b32_e32 v38, v61, v38, vcc_lo
	v_cmp_gt_i32_e32 vcc_lo, 1, v41
	v_lshrrev_b32_e32 v56, 2, v56
	v_cmp_eq_u32_e64 s0, 3, v58
	s_wait_alu 0xfffd
	v_cndmask_b32_e32 v40, v63, v40, vcc_lo
	v_cmp_gt_i32_e32 vcc_lo, 1, v43
	v_and_or_b32 v29, 0x1ff, v30, v29
	s_delay_alu instid0(VALU_DEP_3)
	v_and_b32_e32 v60, 7, v40
	s_wait_alu 0xfffd
	v_cndmask_b32_e32 v42, v65, v42, vcc_lo
	v_cmp_gt_i32_e32 vcc_lo, 1, v45
	v_lshrrev_b32_e32 v40, 2, v40
	v_cmp_lt_i32_e64 s3, 5, v60
	v_cmp_eq_u32_e64 s4, 3, v60
	s_wait_alu 0xfffd
	v_cndmask_b32_e32 v44, v67, v44, vcc_lo
	v_cmp_gt_i32_e32 vcc_lo, 1, v47
	s_delay_alu instid0(VALU_DEP_2)
	v_and_b32_e32 v62, 7, v44
	s_wait_alu 0xfffd
	v_cndmask_b32_e32 v46, v69, v46, vcc_lo
	v_cmp_gt_i32_e32 vcc_lo, 1, v49
	v_lshrrev_b32_e32 v44, 2, v44
	v_cmp_lt_i32_e64 s7, 5, v62
	v_cmp_eq_u32_e64 s8, 3, v62
	s_wait_alu 0xfffd
	v_cndmask_b32_e32 v48, v71, v48, vcc_lo
	v_cmp_gt_i32_e32 vcc_lo, 1, v51
	s_delay_alu instid0(VALU_DEP_2)
	;; [unrolled: 11-line block ×3, first 2 shown]
	v_and_b32_e32 v66, 7, v52
	s_wait_alu 0xfffd
	v_cndmask_b32_e32 v54, v77, v54, vcc_lo
	v_cmp_gt_i32_e32 vcc_lo, 1, v57
	v_lshrrev_b32_e32 v52, 2, v52
	v_cmp_lt_i32_e64 s15, 5, v66
	v_cmp_eq_u32_e64 s16, 3, v66
	s_wait_alu 0xfffd
	v_cndmask_b32_e32 v11, v79, v11, vcc_lo
	v_cmp_lt_i32_e32 vcc_lo, 5, v58
	s_delay_alu instid0(VALU_DEP_2)
	v_and_b32_e32 v68, 7, v11
	s_or_b32 vcc_lo, s0, vcc_lo
	s_wait_alu 0xfffe
	v_add_co_ci_u32_e32 v56, vcc_lo, 0, v56, vcc_lo
	v_and_b32_e32 v59, 7, v38
	v_lshrrev_b32_e32 v38, 2, v38
	v_cmp_eq_u32_e64 s0, 3, v68
	s_delay_alu instid0(VALU_DEP_3) | instskip(SKIP_1) | instid1(VALU_DEP_1)
	v_cmp_lt_i32_e64 s1, 5, v59
	v_cmp_eq_u32_e64 s2, 3, v59
	s_or_b32 vcc_lo, s2, s1
	s_wait_alu 0xfffe
	v_add_co_ci_u32_e32 v38, vcc_lo, 0, v38, vcc_lo
	s_or_b32 vcc_lo, s4, s3
	s_wait_alu 0xfffe
	v_add_co_ci_u32_e32 v40, vcc_lo, 0, v40, vcc_lo
	v_and_b32_e32 v61, 7, v42
	v_lshrrev_b32_e32 v42, 2, v42
	s_delay_alu instid0(VALU_DEP_2) | instskip(SKIP_1) | instid1(VALU_DEP_1)
	v_cmp_lt_i32_e64 s5, 5, v61
	v_cmp_eq_u32_e64 s6, 3, v61
	s_or_b32 vcc_lo, s6, s5
	s_wait_alu 0xfffe
	v_add_co_ci_u32_e32 v42, vcc_lo, 0, v42, vcc_lo
	s_or_b32 vcc_lo, s8, s7
	s_wait_alu 0xfffe
	v_add_co_ci_u32_e32 v44, vcc_lo, 0, v44, vcc_lo
	v_and_b32_e32 v63, 7, v46
	v_lshrrev_b32_e32 v46, 2, v46
	s_delay_alu instid0(VALU_DEP_2) | instskip(SKIP_1) | instid1(VALU_DEP_1)
	;; [unrolled: 11-line block ×4, first 2 shown]
	v_cmp_lt_i32_e64 s17, 5, v67
	v_cmp_eq_u32_e64 s18, 3, v67
	s_or_b32 vcc_lo, s18, s17
	s_wait_alu 0xfffe
	v_add_co_ci_u32_e32 v54, vcc_lo, 0, v54, vcc_lo
	v_cmp_gt_i32_e32 vcc_lo, 31, v37
	s_wait_alu 0xfffd
	v_cndmask_b32_e32 v56, 0x7c00, v56, vcc_lo
	v_cmp_gt_i32_e32 vcc_lo, 31, v39
	s_wait_alu 0xfffd
	v_cndmask_b32_e32 v38, 0x7c00, v38, vcc_lo
	;; [unrolled: 3-line block ×10, first 2 shown]
	v_cmp_eq_u32_e32 vcc_lo, 0x40f, v37
	s_wait_alu 0xfffd
	v_cndmask_b32_e32 v8, v56, v8, vcc_lo
	v_cmp_eq_u32_e32 vcc_lo, 0x40f, v39
	s_delay_alu instid0(VALU_DEP_2) | instskip(SKIP_3) | instid1(VALU_DEP_2)
	v_and_or_b32 v8, 0x8000, v12, v8
	s_wait_alu 0xfffd
	v_cndmask_b32_e32 v13, v38, v13, vcc_lo
	v_cmp_eq_u32_e32 vcc_lo, 0x40f, v41
	v_and_or_b32 v12, 0x8000, v14, v13
	s_wait_alu 0xfffd
	v_cndmask_b32_e32 v0, v40, v0, vcc_lo
	v_cmp_eq_u32_e32 vcc_lo, 0x40f, v43
	v_lshrrev_b32_e32 v13, 8, v32
	v_bfe_u32 v14, v32, 20, 11
	s_delay_alu instid0(VALU_DEP_4) | instskip(SKIP_3) | instid1(VALU_DEP_3)
	v_and_or_b32 v0, 0x8000, v1, v0
	s_wait_alu 0xfffd
	v_cndmask_b32_e32 v4, v42, v4, vcc_lo
	v_cmp_eq_u32_e32 vcc_lo, 0x40f, v45
	v_and_b32_e32 v0, 0xffff, v0
	s_delay_alu instid0(VALU_DEP_3) | instskip(SKIP_3) | instid1(VALU_DEP_3)
	v_and_or_b32 v1, 0x8000, v5, v4
	s_wait_alu 0xfffd
	v_cndmask_b32_e32 v9, v44, v9, vcc_lo
	v_cmp_eq_u32_e32 vcc_lo, 0x40f, v47
	v_lshl_or_b32 v0, v1, 16, v0
	s_delay_alu instid0(VALU_DEP_3) | instskip(SKIP_3) | instid1(VALU_DEP_3)
	v_and_or_b32 v4, 0x8000, v10, v9
	s_wait_alu 0xfffd
	v_cndmask_b32_e32 v6, v46, v6, vcc_lo
	v_cmp_eq_u32_e32 vcc_lo, 0x40f, v49
	v_and_b32_e32 v4, 0xffff, v4
	s_delay_alu instid0(VALU_DEP_3)
	v_and_or_b32 v5, 0x8000, v7, v6
	v_and_b32_e32 v7, 0xffff, v8
	s_wait_alu 0xfffd
	v_cndmask_b32_e32 v17, v48, v17, vcc_lo
	v_cmp_eq_u32_e32 vcc_lo, 0x40f, v51
	v_lshl_or_b32 v10, v5, 16, v4
	v_lshl_or_b32 v7, v12, 16, v7
	s_clause 0x1
	global_store_b32 v[2:3], v7, off
	global_store_b32 v[15:16], v0, off
	s_wait_alu 0xfffd
	v_cndmask_b32_e32 v21, v50, v21, vcc_lo
	v_cmp_eq_u32_e32 vcc_lo, 0x40f, v53
	v_and_or_b32 v6, 0x8000, v18, v17
	v_lshrrev_b32_e32 v3, 8, v30
	v_mul_f64_e32 v[0:1], s[22:23], v[35:36]
	v_bfe_u32 v4, v30, 20, 11
	s_wait_alu 0xfffd
	v_cndmask_b32_e32 v23, v52, v23, vcc_lo
	v_cmp_eq_u32_e32 vcc_lo, 0x40f, v55
	v_and_or_b32 v8, 0x8000, v22, v21
	v_and_b32_e32 v6, 0xffff, v6
	v_and_or_b32 v12, 0x1ff, v32, v31
	v_and_or_b32 v9, 0x8000, v24, v23
	s_wait_alu 0xfffd
	v_cndmask_b32_e32 v25, v54, v25, vcc_lo
	v_cmp_ne_u32_e32 vcc_lo, 0, v29
	v_lshl_or_b32 v6, v8, 16, v6
	v_and_b32_e32 v7, 0xffff, v9
	s_delay_alu instid0(VALU_DEP_4) | instskip(SKIP_3) | instid1(VALU_DEP_3)
	v_and_or_b32 v5, 0x8000, v26, v25
	s_wait_alu 0xfffd
	v_cndmask_b32_e64 v2, 0, 1, vcc_lo
	v_cmp_lt_i32_e32 vcc_lo, 5, v68
	v_lshl_or_b32 v7, v5, 16, v7
	v_lshrrev_b32_e32 v5, 2, v11
	s_delay_alu instid0(VALU_DEP_4)
	v_and_or_b32 v2, 0xffe, v3, v2
	v_sub_nc_u32_e32 v3, 0x3f1, v4
	s_or_b32 vcc_lo, s0, vcc_lo
	v_add_nc_u32_e32 v4, 0xfffffc10, v4
	s_wait_alu 0xfffe
	v_add_co_ci_u32_e32 v5, vcc_lo, 0, v5, vcc_lo
	v_or_b32_e32 v8, 0x1000, v2
	v_med3_i32 v3, v3, 0, 13
	v_cmp_ne_u32_e32 vcc_lo, 0, v27
	s_delay_alu instid0(VALU_DEP_2) | instskip(SKIP_3) | instid1(VALU_DEP_3)
	v_lshrrev_b32_e32 v11, v3, v8
	s_wait_alu 0xfffd
	v_cndmask_b32_e64 v9, 0, 1, vcc_lo
	v_cmp_gt_i32_e32 vcc_lo, 31, v57
	v_lshlrev_b32_e32 v3, v3, v11
	s_delay_alu instid0(VALU_DEP_3)
	v_lshl_or_b32 v9, v9, 9, 0x7c00
	s_wait_alu 0xfffd
	v_cndmask_b32_e32 v5, 0x7c00, v5, vcc_lo
	v_cmp_ne_u32_e32 vcc_lo, 0, v12
	v_and_or_b32 v0, 0x1ff, v1, v0
	v_lshrrev_b32_e32 v15, 8, v1
	v_bfe_u32 v16, v1, 20, 11
	s_wait_alu 0xfffd
	v_cndmask_b32_e64 v12, 0, 1, vcc_lo
	v_cmp_ne_u32_e32 vcc_lo, v3, v8
	s_delay_alu instid0(VALU_DEP_2)
	v_and_or_b32 v8, 0xffe, v13, v12
	s_wait_alu 0xfffd
	v_cndmask_b32_e64 v3, 0, 1, vcc_lo
	v_sub_nc_u32_e32 v12, 0x3f1, v14
	v_cmp_eq_u32_e32 vcc_lo, 0x40f, v57
	v_lshrrev_b32_e32 v13, 16, v28
	v_add_nc_u32_e32 v14, 0xfffffc10, v14
	v_or_b32_e32 v3, v11, v3
	v_or_b32_e32 v11, 0x1000, v8
	s_wait_alu 0xfffd
	v_cndmask_b32_e32 v5, v5, v9, vcc_lo
	v_lshl_or_b32 v9, v4, 12, v2
	v_med3_i32 v12, v12, 0, 13
	v_cmp_gt_i32_e32 vcc_lo, 1, v4
	s_delay_alu instid0(VALU_DEP_4)
	v_and_or_b32 v5, 0x8000, v13, v5
	v_sub_nc_u32_e32 v13, 0x3f1, v16
	s_wait_alu 0xfffd
	v_cndmask_b32_e32 v3, v9, v3, vcc_lo
	v_lshrrev_b32_e32 v9, v12, v11
	v_cmp_ne_u32_e32 vcc_lo, 0, v0
	v_med3_i32 v13, v13, 0, 13
	s_delay_alu instid0(VALU_DEP_4) | instskip(NEXT) | instid1(VALU_DEP_4)
	v_and_b32_e32 v17, 7, v3
	v_lshlrev_b32_e32 v12, v12, v9
	s_wait_alu 0xfffd
	v_cndmask_b32_e64 v0, 0, 1, vcc_lo
	v_lshrrev_b32_e32 v3, 2, v3
	v_cmp_lt_i32_e32 vcc_lo, 5, v17
	v_cmp_ne_u32_e64 s0, v12, v11
	s_delay_alu instid0(VALU_DEP_4) | instskip(SKIP_2) | instid1(VALU_DEP_3)
	v_and_or_b32 v0, 0xffe, v15, v0
	v_lshl_or_b32 v15, v14, 12, v8
	s_wait_alu 0xf1ff
	v_cndmask_b32_e64 v11, 0, 1, s0
	v_cmp_eq_u32_e64 s0, 3, v17
	v_or_b32_e32 v12, 0x1000, v0
	s_delay_alu instid0(VALU_DEP_3) | instskip(NEXT) | instid1(VALU_DEP_3)
	v_or_b32_e32 v9, v9, v11
	s_or_b32 vcc_lo, s0, vcc_lo
	s_delay_alu instid0(VALU_DEP_2) | instskip(SKIP_3) | instid1(VALU_DEP_3)
	v_lshrrev_b32_e32 v11, v13, v12
	s_wait_alu 0xfffe
	v_add_co_ci_u32_e32 v3, vcc_lo, 0, v3, vcc_lo
	v_cmp_gt_i32_e32 vcc_lo, 1, v14
	v_lshlrev_b32_e32 v13, v13, v11
	s_wait_alu 0xfffd
	v_cndmask_b32_e32 v9, v15, v9, vcc_lo
	v_cmp_ne_u32_e32 vcc_lo, 0, v2
	s_delay_alu instid0(VALU_DEP_2)
	v_and_b32_e32 v15, 7, v9
	s_wait_alu 0xfffd
	v_cndmask_b32_e64 v2, 0, 1, vcc_lo
	v_cmp_ne_u32_e32 vcc_lo, v13, v12
	v_add_nc_u32_e32 v13, 0xfffffc10, v16
	v_cmp_eq_u32_e64 s0, 3, v15
	s_delay_alu instid0(VALU_DEP_4) | instskip(SKIP_4) | instid1(VALU_DEP_3)
	v_lshl_or_b32 v2, v2, 9, 0x7c00
	s_wait_alu 0xfffd
	v_cndmask_b32_e64 v12, 0, 1, vcc_lo
	v_cmp_gt_i32_e32 vcc_lo, 31, v4
	v_cmp_gt_i32_e64 s1, 1, v13
	v_or_b32_e32 v11, v11, v12
	v_lshl_or_b32 v12, v13, 12, v0
	s_wait_alu 0xfffd
	v_cndmask_b32_e32 v3, 0x7c00, v3, vcc_lo
	v_cmp_lt_i32_e32 vcc_lo, 5, v15
	s_wait_alu 0xf1ff
	v_cndmask_b32_e64 v11, v12, v11, s1
	v_cmp_eq_u32_e64 s1, 0x40f, v4
	s_or_b32 vcc_lo, s0, vcc_lo
	v_lshrrev_b32_e32 v4, 16, v30
	s_delay_alu instid0(VALU_DEP_2) | instskip(SKIP_3) | instid1(VALU_DEP_4)
	v_cndmask_b32_e64 v2, v3, v2, s1
	v_lshrrev_b32_e32 v3, 2, v9
	v_and_b32_e32 v9, 7, v11
	v_cmp_gt_i32_e64 s1, 31, v14
	v_and_or_b32 v2, 0x8000, v4, v2
	s_wait_alu 0xfffe
	v_add_co_ci_u32_e32 v3, vcc_lo, 0, v3, vcc_lo
	v_cmp_ne_u32_e32 vcc_lo, 0, v8
	v_cmp_eq_u32_e64 s0, 3, v9
	v_and_b32_e32 v4, 0xffff, v5
	s_wait_alu 0xf1ff
	v_cndmask_b32_e64 v3, 0x7c00, v3, s1
	s_wait_alu 0xfffd
	v_cndmask_b32_e64 v8, 0, 1, vcc_lo
	v_cmp_lt_i32_e32 vcc_lo, 5, v9
	v_lshrrev_b32_e32 v9, 2, v11
	s_delay_alu instid0(VALU_DEP_3) | instskip(SKIP_2) | instid1(VALU_DEP_2)
	v_lshl_or_b32 v8, v8, 9, 0x7c00
	s_or_b32 vcc_lo, s0, vcc_lo
	s_wait_alu 0xfffe
	v_add_co_ci_u32_e32 v9, vcc_lo, 0, v9, vcc_lo
	v_cmp_ne_u32_e32 vcc_lo, 0, v0
	s_wait_alu 0xfffd
	v_cndmask_b32_e64 v0, 0, 1, vcc_lo
	v_cmp_eq_u32_e32 vcc_lo, 0x40f, v14
	s_delay_alu instid0(VALU_DEP_2)
	v_lshl_or_b32 v0, v0, 9, 0x7c00
	s_wait_alu 0xfffd
	v_cndmask_b32_e32 v3, v3, v8, vcc_lo
	v_cmp_gt_i32_e32 vcc_lo, 31, v13
	v_lshrrev_b32_e32 v8, 16, v32
	s_wait_alu 0xfffd
	v_cndmask_b32_e32 v9, 0x7c00, v9, vcc_lo
	v_cmp_eq_u32_e32 vcc_lo, 0x40f, v13
	s_delay_alu instid0(VALU_DEP_3)
	v_and_or_b32 v3, 0x8000, v8, v3
	v_lshrrev_b32_e32 v8, 16, v1
	s_wait_alu 0xfffd
	v_cndmask_b32_e32 v5, v9, v0, vcc_lo
	v_add_co_u32 v0, vcc_lo, v33, s20
	s_wait_alu 0xfffd
	v_add_co_ci_u32_e32 v1, vcc_lo, s21, v34, vcc_lo
	v_lshl_or_b32 v9, v2, 16, v4
	v_and_or_b32 v4, 0x8000, v8, v5
	v_and_b32_e32 v5, 0xffff, v3
	v_add_co_u32 v2, vcc_lo, v0, s20
	s_wait_alu 0xfffd
	v_add_co_ci_u32_e32 v3, vcc_lo, s21, v1, vcc_lo
	s_delay_alu instid0(VALU_DEP_3) | instskip(NEXT) | instid1(VALU_DEP_3)
	v_lshl_or_b32 v8, v4, 16, v5
	v_add_co_u32 v4, vcc_lo, v2, s20
	s_wait_alu 0xfffd
	s_delay_alu instid0(VALU_DEP_3)
	v_add_co_ci_u32_e32 v5, vcc_lo, s21, v3, vcc_lo
	s_clause 0x2
	global_store_b32 v[19:20], v10, off
	global_store_b32 v[33:34], v6, off
	;; [unrolled: 1-line block ×5, first 2 shown]
.LBB0_15:
	s_nop 0
	s_sendmsg sendmsg(MSG_DEALLOC_VGPRS)
	s_endpgm
	.section	.rodata,"a",@progbits
	.p2align	6, 0x0
	.amdhsa_kernel bluestein_single_back_len875_dim1_half_op_CI_CI
		.amdhsa_group_segment_fixed_size 3500
		.amdhsa_private_segment_fixed_size 0
		.amdhsa_kernarg_size 104
		.amdhsa_user_sgpr_count 2
		.amdhsa_user_sgpr_dispatch_ptr 0
		.amdhsa_user_sgpr_queue_ptr 0
		.amdhsa_user_sgpr_kernarg_segment_ptr 1
		.amdhsa_user_sgpr_dispatch_id 0
		.amdhsa_user_sgpr_private_segment_size 0
		.amdhsa_wavefront_size32 1
		.amdhsa_uses_dynamic_stack 0
		.amdhsa_enable_private_segment 0
		.amdhsa_system_sgpr_workgroup_id_x 1
		.amdhsa_system_sgpr_workgroup_id_y 0
		.amdhsa_system_sgpr_workgroup_id_z 0
		.amdhsa_system_sgpr_workgroup_info 0
		.amdhsa_system_vgpr_workitem_id 0
		.amdhsa_next_free_vgpr 90
		.amdhsa_next_free_sgpr 24
		.amdhsa_reserve_vcc 1
		.amdhsa_float_round_mode_32 0
		.amdhsa_float_round_mode_16_64 0
		.amdhsa_float_denorm_mode_32 3
		.amdhsa_float_denorm_mode_16_64 3
		.amdhsa_fp16_overflow 0
		.amdhsa_workgroup_processor_mode 1
		.amdhsa_memory_ordered 1
		.amdhsa_forward_progress 0
		.amdhsa_round_robin_scheduling 0
		.amdhsa_exception_fp_ieee_invalid_op 0
		.amdhsa_exception_fp_denorm_src 0
		.amdhsa_exception_fp_ieee_div_zero 0
		.amdhsa_exception_fp_ieee_overflow 0
		.amdhsa_exception_fp_ieee_underflow 0
		.amdhsa_exception_fp_ieee_inexact 0
		.amdhsa_exception_int_div_zero 0
	.end_amdhsa_kernel
	.text
.Lfunc_end0:
	.size	bluestein_single_back_len875_dim1_half_op_CI_CI, .Lfunc_end0-bluestein_single_back_len875_dim1_half_op_CI_CI
                                        ; -- End function
	.section	.AMDGPU.csdata,"",@progbits
; Kernel info:
; codeLenInByte = 11332
; NumSgprs: 26
; NumVgprs: 90
; ScratchSize: 0
; MemoryBound: 0
; FloatMode: 240
; IeeeMode: 1
; LDSByteSize: 3500 bytes/workgroup (compile time only)
; SGPRBlocks: 3
; VGPRBlocks: 11
; NumSGPRsForWavesPerEU: 26
; NumVGPRsForWavesPerEU: 90
; Occupancy: 15
; WaveLimiterHint : 1
; COMPUTE_PGM_RSRC2:SCRATCH_EN: 0
; COMPUTE_PGM_RSRC2:USER_SGPR: 2
; COMPUTE_PGM_RSRC2:TRAP_HANDLER: 0
; COMPUTE_PGM_RSRC2:TGID_X_EN: 1
; COMPUTE_PGM_RSRC2:TGID_Y_EN: 0
; COMPUTE_PGM_RSRC2:TGID_Z_EN: 0
; COMPUTE_PGM_RSRC2:TIDIG_COMP_CNT: 0
	.text
	.p2alignl 7, 3214868480
	.fill 96, 4, 3214868480
	.type	__hip_cuid_909786bee93a3cce,@object ; @__hip_cuid_909786bee93a3cce
	.section	.bss,"aw",@nobits
	.globl	__hip_cuid_909786bee93a3cce
__hip_cuid_909786bee93a3cce:
	.byte	0                               ; 0x0
	.size	__hip_cuid_909786bee93a3cce, 1

	.ident	"AMD clang version 19.0.0git (https://github.com/RadeonOpenCompute/llvm-project roc-6.4.0 25133 c7fe45cf4b819c5991fe208aaa96edf142730f1d)"
	.section	".note.GNU-stack","",@progbits
	.addrsig
	.addrsig_sym __hip_cuid_909786bee93a3cce
	.amdgpu_metadata
---
amdhsa.kernels:
  - .args:
      - .actual_access:  read_only
        .address_space:  global
        .offset:         0
        .size:           8
        .value_kind:     global_buffer
      - .actual_access:  read_only
        .address_space:  global
        .offset:         8
        .size:           8
        .value_kind:     global_buffer
      - .actual_access:  read_only
        .address_space:  global
        .offset:         16
        .size:           8
        .value_kind:     global_buffer
      - .actual_access:  read_only
        .address_space:  global
        .offset:         24
        .size:           8
        .value_kind:     global_buffer
      - .actual_access:  read_only
        .address_space:  global
        .offset:         32
        .size:           8
        .value_kind:     global_buffer
      - .offset:         40
        .size:           8
        .value_kind:     by_value
      - .address_space:  global
        .offset:         48
        .size:           8
        .value_kind:     global_buffer
      - .address_space:  global
        .offset:         56
        .size:           8
        .value_kind:     global_buffer
      - .address_space:  global
        .offset:         64
        .size:           8
        .value_kind:     global_buffer
      - .address_space:  global
        .offset:         72
        .size:           8
        .value_kind:     global_buffer
      - .offset:         80
        .size:           4
        .value_kind:     by_value
      - .address_space:  global
        .offset:         88
        .size:           8
        .value_kind:     global_buffer
      - .address_space:  global
        .offset:         96
        .size:           8
        .value_kind:     global_buffer
    .group_segment_fixed_size: 3500
    .kernarg_segment_align: 8
    .kernarg_segment_size: 104
    .language:       OpenCL C
    .language_version:
      - 2
      - 0
    .max_flat_workgroup_size: 175
    .name:           bluestein_single_back_len875_dim1_half_op_CI_CI
    .private_segment_fixed_size: 0
    .sgpr_count:     26
    .sgpr_spill_count: 0
    .symbol:         bluestein_single_back_len875_dim1_half_op_CI_CI.kd
    .uniform_work_group_size: 1
    .uses_dynamic_stack: false
    .vgpr_count:     90
    .vgpr_spill_count: 0
    .wavefront_size: 32
    .workgroup_processor_mode: 1
amdhsa.target:   amdgcn-amd-amdhsa--gfx1201
amdhsa.version:
  - 1
  - 2
...

	.end_amdgpu_metadata
